;; amdgpu-corpus repo=ggml-org/llama.cpp kind=compiled arch=gfx1030 opt=O3
	.amdgcn_target "amdgcn-amd-amdhsa--gfx1030"
	.amdhsa_code_object_version 6
	.section	.text._Z13topk_moe_cudaILi1ELb1EEvPKfPfPiS2_iiff15topk_moe_config,"axG",@progbits,_Z13topk_moe_cudaILi1ELb1EEvPKfPfPiS2_iiff15topk_moe_config,comdat
	.protected	_Z13topk_moe_cudaILi1ELb1EEvPKfPfPiS2_iiff15topk_moe_config ; -- Begin function _Z13topk_moe_cudaILi1ELb1EEvPKfPfPiS2_iiff15topk_moe_config
	.globl	_Z13topk_moe_cudaILi1ELb1EEvPKfPfPiS2_iiff15topk_moe_config
	.p2align	8
	.type	_Z13topk_moe_cudaILi1ELb1EEvPKfPfPiS2_iiff15topk_moe_config,@function
_Z13topk_moe_cudaILi1ELb1EEvPKfPfPiS2_iiff15topk_moe_config: ; @_Z13topk_moe_cudaILi1ELb1EEvPKfPfPiS2_iiff15topk_moe_config
; %bb.0:
	s_clause 0x1
	s_load_dword s0, s[4:5], 0x44
	s_load_dwordx4 s[12:15], s[4:5], 0x20
	s_waitcnt lgkmcnt(0)
	s_lshr_b32 s0, s0, 16
	v_mad_u64_u32 v[1:2], null, s6, s0, v[1:2]
	s_mov_b32 s0, exec_lo
	v_cmpx_gt_i32_e64 s12, v1
	s_cbranch_execz .LBB0_43
; %bb.1:
	v_mov_b32_e32 v2, 0
	v_cmp_eq_u32_e64 s1, 0, v0
	v_mov_b32_e32 v4, 0xff800000
	s_clause 0x1
	global_load_ushort v5, v2, s[4:5] offset:48
	global_load_sbyte v6, v2, s[4:5] offset:50
	s_load_dwordx8 s[4:11], s[4:5], 0x0
	v_ashrrev_i32_e32 v2, 31, v1
	v_lshlrev_b64 v[2:3], 2, v[1:2]
	s_waitcnt vmcnt(1)
	v_readfirstlane_b32 s2, v5
	s_and_saveexec_b32 s0, s1
	s_cbranch_execz .LBB0_3
; %bb.2:
	s_waitcnt lgkmcnt(0)
	v_add_co_u32 v7, vcc_lo, s4, v2
	v_add_co_ci_u32_e64 v8, null, s5, v3, vcc_lo
	global_load_dword v4, v[7:8], off
.LBB0_3:
	s_or_b32 exec_lo, exec_lo, s0
	s_waitcnt vmcnt(0)
	v_and_b32_e32 v6, 1, v6
	v_cmp_eq_u32_e64 s0, 1, v6
	s_and_b32 vcc_lo, exec_lo, s0
	s_cbranch_vccnz .LBB0_9
; %bb.4:
	v_and_b32_e32 v5, 1, v5
	s_mov_b32 s3, 0
	v_cmp_eq_u32_e32 vcc_lo, 0, v5
	s_cbranch_vccz .LBB0_6
; %bb.5:
	v_mbcnt_lo_u32_b32 v5, -1, 0
	v_max_f32_e32 v7, v4, v4
	v_xor_b32_e32 v6, 16, v5
	v_max_f32_e32 v7, 0xff800000, v7
	v_xor_b32_e32 v9, 8, v5
	v_xor_b32_e32 v10, 4, v5
	;; [unrolled: 1-line block ×3, first 2 shown]
	v_cmp_gt_i32_e32 vcc_lo, 32, v6
	v_xor_b32_e32 v12, 1, v5
	v_cndmask_b32_e32 v6, v5, v6, vcc_lo
	v_cmp_gt_i32_e32 vcc_lo, 32, v9
	v_lshlrev_b32_e32 v6, 2, v6
	v_cndmask_b32_e32 v9, v5, v9, vcc_lo
	v_cmp_gt_i32_e32 vcc_lo, 32, v10
	ds_bpermute_b32 v8, v6, v7
	v_lshlrev_b32_e32 v9, 2, v9
	v_cndmask_b32_e32 v10, v5, v10, vcc_lo
	v_cmp_gt_i32_e32 vcc_lo, 32, v11
	v_lshlrev_b32_e32 v10, 2, v10
	v_cndmask_b32_e32 v11, v5, v11, vcc_lo
	v_cmp_gt_i32_e32 vcc_lo, 32, v12
	v_lshlrev_b32_e32 v11, 2, v11
	v_cndmask_b32_e32 v5, v5, v12, vcc_lo
	v_lshlrev_b32_e32 v5, 2, v5
	s_waitcnt lgkmcnt(0)
	v_max_f32_e32 v8, v8, v8
	v_max_f32_e32 v7, v7, v8
	ds_bpermute_b32 v8, v9, v7
	s_waitcnt lgkmcnt(0)
	v_max_f32_e32 v8, v8, v8
	v_max_f32_e32 v7, v7, v8
	ds_bpermute_b32 v8, v10, v7
	;; [unrolled: 4-line block ×4, first 2 shown]
	s_waitcnt lgkmcnt(0)
	v_max_f32_e32 v8, v8, v8
	v_max_f32_e32 v7, v7, v8
	v_sub_f32_e32 v7, v4, v7
	v_mul_f32_e32 v8, 0x3fb8aa3b, v7
	v_cmp_ngt_f32_e32 vcc_lo, 0xc2ce8ed0, v7
	v_fma_f32 v12, 0x3fb8aa3b, v7, -v8
	v_rndne_f32_e32 v13, v8
	v_fmamk_f32 v12, v7, 0x32a5705f, v12
	v_sub_f32_e32 v8, v8, v13
	v_add_f32_e32 v8, v8, v12
	v_cvt_i32_f32_e32 v12, v13
	v_exp_f32_e32 v8, v8
	v_ldexp_f32 v8, v8, v12
	v_cndmask_b32_e32 v8, 0, v8, vcc_lo
	v_cmp_nlt_f32_e32 vcc_lo, 0x42b17218, v7
	v_cndmask_b32_e32 v7, 0x7f800000, v8, vcc_lo
	ds_bpermute_b32 v6, v6, v7
	s_waitcnt lgkmcnt(0)
	v_add_f32_e32 v6, v7, v6
	ds_bpermute_b32 v8, v9, v6
	s_waitcnt lgkmcnt(0)
	v_add_f32_e32 v6, v6, v8
	;; [unrolled: 3-line block ×5, first 2 shown]
	v_div_scale_f32 v6, null, v5, v5, 1.0
	v_rcp_f32_e32 v8, v6
	v_fma_f32 v9, -v6, v8, 1.0
	v_fmac_f32_e32 v8, v9, v8
	v_div_scale_f32 v9, vcc_lo, 1.0, v5, 1.0
	v_mul_f32_e32 v10, v9, v8
	v_fma_f32 v11, -v6, v10, v9
	v_fmac_f32_e32 v10, v11, v8
	v_fma_f32 v6, -v6, v10, v9
	v_div_fmas_f32 v6, v6, v8, v10
	v_div_fixup_f32 v5, v6, v5, 1.0
	v_mul_f32_e32 v5, v7, v5
	s_andn2_b32 vcc_lo, exec_lo, s3
	s_cbranch_vccz .LBB0_7
	s_branch .LBB0_8
.LBB0_6:
                                        ; implicit-def: $vgpr5
.LBB0_7:
	v_mul_f32_e32 v5, 0xbfb8aa3b, v4
	v_cmp_nlt_f32_e32 vcc_lo, 0x42ce8ed0, v4
	v_rndne_f32_e32 v6, v5
	v_fma_f32 v7, 0xbfb8aa3b, v4, -v5
	v_sub_f32_e32 v5, v5, v6
	v_fmamk_f32 v7, v4, 0xb2a5705f, v7
	v_cvt_i32_f32_e32 v6, v6
	v_add_f32_e32 v5, v5, v7
	v_exp_f32_e32 v5, v5
	v_ldexp_f32 v5, v5, v6
	v_cndmask_b32_e32 v5, 0, v5, vcc_lo
	v_cmp_ngt_f32_e32 vcc_lo, 0xc2b17218, v4
	v_cndmask_b32_e32 v4, 0x7f800000, v5, vcc_lo
	v_add_f32_e32 v4, 1.0, v4
	v_div_scale_f32 v5, null, v4, v4, 1.0
	v_rcp_f32_e32 v6, v5
	v_fma_f32 v7, -v5, v6, 1.0
	v_fmac_f32_e32 v6, v7, v6
	v_div_scale_f32 v7, vcc_lo, 1.0, v4, 1.0
	v_mul_f32_e32 v8, v7, v6
	v_fma_f32 v9, -v5, v8, v7
	v_fmac_f32_e32 v8, v9, v6
	v_fma_f32 v5, -v5, v8, v7
	v_div_fmas_f32 v5, v5, v6, v8
	v_div_fixup_f32 v5, v5, v4, 1.0
.LBB0_8:
	v_mov_b32_e32 v4, v5
.LBB0_9:
	v_cmp_o_f32_e32 vcc_lo, v4, v4
	v_mov_b32_e32 v7, 0xff800000
	v_cndmask_b32_e32 v6, 0xff7fffff, v4, vcc_lo
	s_and_saveexec_b32 s3, s1
	s_cbranch_execz .LBB0_11
; %bb.10:
	s_waitcnt lgkmcnt(0)
	s_load_dword s1, s[10:11], 0x0
	s_waitcnt lgkmcnt(0)
	v_add_f32_e32 v7, s1, v6
.LBB0_11:
	s_or_b32 exec_lo, exec_lo, s3
	s_lshr_b32 s1, s2, 8
	s_cmp_gt_i32 s13, 0
	s_mov_b32 s3, 0
	s_cbranch_scc1 .LBB0_13
; %bb.12:
	s_bitcmp1_b32 s1, 0
	s_cselect_b32 s2, -1, 0
	s_branch .LBB0_14
.LBB0_13:
	s_mov_b32 s3, -1
                                        ; implicit-def: $sgpr2
.LBB0_14:
	v_mov_b32_e32 v8, 0
	v_mbcnt_lo_u32_b32 v4, -1, 0
	v_mov_b32_e32 v5, 0
	s_andn2_b32 vcc_lo, exec_lo, s3
	s_cbranch_vccnz .LBB0_39
; %bb.15:
	v_xor_b32_e32 v5, 16, v4
	s_waitcnt lgkmcnt(0)
	v_add_co_u32 v2, vcc_lo, s8, v2
	v_add_co_ci_u32_e64 v3, null, s9, v3, vcc_lo
	v_xor_b32_e32 v8, 8, v4
	v_cmp_gt_i32_e32 vcc_lo, 32, v5
	v_xor_b32_e32 v9, 4, v4
	v_xor_b32_e32 v10, 2, v4
	;; [unrolled: 1-line block ×3, first 2 shown]
	s_bitcmp1_b32 s1, 0
	v_cndmask_b32_e32 v5, v4, v5, vcc_lo
	v_cmp_gt_i32_e32 vcc_lo, 32, v8
	s_mov_b32 s3, 0
	s_cselect_b32 s2, -1, 0
	v_cndmask_b32_e32 v8, v4, v8, vcc_lo
	v_cmp_gt_i32_e32 vcc_lo, 32, v9
	v_cndmask_b32_e32 v12, v4, v9, vcc_lo
	v_cmp_gt_i32_e32 vcc_lo, 32, v10
	v_lshlrev_b32_e32 v9, 2, v5
	v_mov_b32_e32 v5, 0
	v_cndmask_b32_e32 v13, v4, v10, vcc_lo
	v_cmp_gt_i32_e32 vcc_lo, 32, v11
	v_lshlrev_b32_e32 v10, 2, v8
	v_mov_b32_e32 v8, 0
	v_cndmask_b32_e32 v14, v4, v11, vcc_lo
	v_lshlrev_b32_e32 v11, 2, v12
	v_lshlrev_b32_e32 v12, 2, v13
	;; [unrolled: 1-line block ×3, first 2 shown]
	s_branch .LBB0_17
.LBB0_16:                               ;   in Loop: Header=BB0_17 Depth=1
	s_or_b32 exec_lo, exec_lo, s1
	s_and_b32 s1, s3, 31
	v_cndmask_b32_e64 v7, v7, 0xff800000, vcc_lo
	v_cmp_eq_u32_e32 vcc_lo, s1, v0
	s_add_i32 s3, s3, 1
	s_cmp_eq_u32 s13, s3
	v_cndmask_b32_e32 v5, v5, v14, vcc_lo
	v_add_co_u32 v2, vcc_lo, v2, 4
	v_add_co_ci_u32_e64 v3, null, 0, v3, vcc_lo
	s_cbranch_scc1 .LBB0_39
.LBB0_17:                               ; =>This Inner Loop Header: Depth=1
	ds_bpermute_b32 v19, v9, v7
	ds_bpermute_b32 v21, v9, v6
	;; [unrolled: 1-line block ×3, first 2 shown]
	s_mov_b32 s5, exec_lo
	s_waitcnt lgkmcnt(2)
	v_cmp_lt_f32_e64 s4, v7, v19
	v_cmpx_nlt_f32_e32 v7, v19
	s_cbranch_execz .LBB0_19
; %bb.18:                               ;   in Loop: Header=BB0_17 Depth=1
	v_cmp_eq_f32_e32 vcc_lo, v7, v19
	s_waitcnt lgkmcnt(0)
	v_cmp_lt_i32_e64 s1, v20, v0
	s_andn2_b32 s4, s4, exec_lo
	s_and_b32 s1, vcc_lo, s1
	s_and_b32 s1, s1, exec_lo
	s_or_b32 s4, s4, s1
.LBB0_19:                               ;   in Loop: Header=BB0_17 Depth=1
	s_or_b32 exec_lo, exec_lo, s5
	v_mov_b32_e32 v16, v7
	v_mov_b32_e32 v17, v6
	;; [unrolled: 1-line block ×5, first 2 shown]
	s_and_saveexec_b32 s1, s4
	s_cbranch_execz .LBB0_21
; %bb.20:                               ;   in Loop: Header=BB0_17 Depth=1
	v_mov_b32_e32 v16, v19
	s_waitcnt lgkmcnt(1)
	v_mov_b32_e32 v17, v21
	v_mov_b32_e32 v14, v21
	s_waitcnt lgkmcnt(0)
	v_mov_b32_e32 v15, v20
	v_mov_b32_e32 v18, v19
.LBB0_21:                               ;   in Loop: Header=BB0_17 Depth=1
	s_or_b32 exec_lo, exec_lo, s1
	ds_bpermute_b32 v19, v10, v16
	s_waitcnt lgkmcnt(2)
	ds_bpermute_b32 v21, v10, v17
	s_waitcnt lgkmcnt(2)
	ds_bpermute_b32 v20, v10, v15
	s_mov_b32 s5, exec_lo
	s_waitcnt lgkmcnt(2)
	v_cmp_lt_f32_e64 s4, v18, v19
	v_cmpx_nlt_f32_e32 v18, v19
	s_cbranch_execz .LBB0_23
; %bb.22:                               ;   in Loop: Header=BB0_17 Depth=1
	v_cmp_eq_f32_e32 vcc_lo, v18, v19
	s_waitcnt lgkmcnt(0)
	v_cmp_lt_i32_e64 s1, v20, v15
	s_andn2_b32 s4, s4, exec_lo
	s_and_b32 s1, vcc_lo, s1
	s_and_b32 s1, s1, exec_lo
	s_or_b32 s4, s4, s1
.LBB0_23:                               ;   in Loop: Header=BB0_17 Depth=1
	s_or_b32 exec_lo, exec_lo, s5
	s_and_saveexec_b32 s1, s4
	s_cbranch_execz .LBB0_25
; %bb.24:                               ;   in Loop: Header=BB0_17 Depth=1
	v_mov_b32_e32 v16, v19
	s_waitcnt lgkmcnt(1)
	v_mov_b32_e32 v17, v21
	v_mov_b32_e32 v14, v21
	s_waitcnt lgkmcnt(0)
	v_mov_b32_e32 v15, v20
	v_mov_b32_e32 v18, v19
.LBB0_25:                               ;   in Loop: Header=BB0_17 Depth=1
	s_or_b32 exec_lo, exec_lo, s1
	ds_bpermute_b32 v19, v11, v16
	s_waitcnt lgkmcnt(2)
	ds_bpermute_b32 v21, v11, v17
	s_waitcnt lgkmcnt(2)
	ds_bpermute_b32 v20, v11, v15
	s_mov_b32 s5, exec_lo
	s_waitcnt lgkmcnt(2)
	v_cmp_lt_f32_e64 s4, v18, v19
	v_cmpx_nlt_f32_e32 v18, v19
	s_cbranch_execz .LBB0_27
; %bb.26:                               ;   in Loop: Header=BB0_17 Depth=1
	v_cmp_eq_f32_e32 vcc_lo, v18, v19
	s_waitcnt lgkmcnt(0)
	v_cmp_lt_i32_e64 s1, v20, v15
	s_andn2_b32 s4, s4, exec_lo
	s_and_b32 s1, vcc_lo, s1
	s_and_b32 s1, s1, exec_lo
	s_or_b32 s4, s4, s1
.LBB0_27:                               ;   in Loop: Header=BB0_17 Depth=1
	s_or_b32 exec_lo, exec_lo, s5
	;; [unrolled: 32-line block ×3, first 2 shown]
	s_and_saveexec_b32 s1, s4
	s_cbranch_execz .LBB0_33
; %bb.32:                               ;   in Loop: Header=BB0_17 Depth=1
	v_mov_b32_e32 v16, v19
	s_waitcnt lgkmcnt(1)
	v_mov_b32_e32 v17, v21
	v_mov_b32_e32 v14, v21
	s_waitcnt lgkmcnt(0)
	v_mov_b32_e32 v15, v20
	v_mov_b32_e32 v18, v19
.LBB0_33:                               ;   in Loop: Header=BB0_17 Depth=1
	s_or_b32 exec_lo, exec_lo, s1
	ds_bpermute_b32 v19, v13, v16
	ds_bpermute_b32 v17, v13, v17
	ds_bpermute_b32 v16, v13, v15
	s_mov_b32 s5, exec_lo
	s_waitcnt lgkmcnt(2)
	v_cmp_lt_f32_e64 s4, v18, v19
	v_cmpx_nlt_f32_e32 v18, v19
	s_cbranch_execz .LBB0_35
; %bb.34:                               ;   in Loop: Header=BB0_17 Depth=1
	v_cmp_eq_f32_e32 vcc_lo, v18, v19
	s_waitcnt lgkmcnt(0)
	v_cmp_lt_i32_e64 s1, v16, v15
	s_andn2_b32 s4, s4, exec_lo
	s_and_b32 s1, vcc_lo, s1
	s_and_b32 s1, s1, exec_lo
	s_or_b32 s4, s4, s1
.LBB0_35:                               ;   in Loop: Header=BB0_17 Depth=1
	s_or_b32 exec_lo, exec_lo, s5
	s_and_saveexec_b32 s1, s4
	s_cbranch_execz .LBB0_37
; %bb.36:                               ;   in Loop: Header=BB0_17 Depth=1
	s_waitcnt lgkmcnt(1)
	v_mov_b32_e32 v14, v17
	s_waitcnt lgkmcnt(0)
	v_mov_b32_e32 v15, v16
.LBB0_37:                               ;   in Loop: Header=BB0_17 Depth=1
	s_or_b32 exec_lo, exec_lo, s1
	s_waitcnt lgkmcnt(0)
	v_and_b32_e32 v16, 31, v15
	v_cmp_eq_u32_e32 vcc_lo, v16, v0
	s_and_saveexec_b32 s1, vcc_lo
	s_cbranch_execz .LBB0_16
; %bb.38:                               ;   in Loop: Header=BB0_17 Depth=1
	v_add_f32_e32 v16, v8, v14
	global_store_dword v[2:3], v15, off
	v_cndmask_b32_e64 v8, v8, v16, s2
	s_branch .LBB0_16
.LBB0_39:
	s_and_b32 vcc_lo, exec_lo, s2
	s_cbranch_vccnz .LBB0_44
; %bb.40:
	v_cmp_gt_i32_e64 s1, s13, v0
	s_andn2_b32 vcc_lo, exec_lo, s0
	s_cbranch_vccz .LBB0_45
.LBB0_41:
	v_cmp_gt_i32_e32 vcc_lo, s13, v0
	s_and_b32 exec_lo, exec_lo, vcc_lo
	s_cbranch_execz .LBB0_43
.LBB0_42:
	v_mul_lo_u32 v1, v1, s13
	v_lshlrev_b32_e32 v0, 2, v0
	v_mul_f32_e32 v3, s15, v5
	v_ashrrev_i32_e32 v2, 31, v1
	v_lshlrev_b64 v[1:2], 2, v[1:2]
	s_waitcnt lgkmcnt(0)
	v_add_co_u32 v1, vcc_lo, s6, v1
	v_add_co_ci_u32_e64 v2, null, s7, v2, vcc_lo
	v_add_co_u32 v0, vcc_lo, v1, v0
	v_add_co_ci_u32_e64 v1, null, 0, v2, vcc_lo
	global_store_dword v[0:1], v3, off
.LBB0_43:
	s_endpgm
.LBB0_44:
	v_xor_b32_e32 v2, 16, v4
	v_xor_b32_e32 v3, 8, v4
	;; [unrolled: 1-line block ×3, first 2 shown]
	v_cmp_gt_i32_e32 vcc_lo, 32, v2
	v_cndmask_b32_e32 v2, v4, v2, vcc_lo
	v_cmp_gt_i32_e32 vcc_lo, 32, v3
	v_lshlrev_b32_e32 v2, 2, v2
	v_cndmask_b32_e32 v3, v4, v3, vcc_lo
	v_cmp_gt_i32_e32 vcc_lo, 32, v6
	ds_bpermute_b32 v2, v2, v8
	v_lshlrev_b32_e32 v3, 2, v3
	v_cndmask_b32_e32 v6, v4, v6, vcc_lo
	v_lshlrev_b32_e32 v6, 2, v6
	s_waitcnt lgkmcnt(0)
	v_add_f32_e32 v2, v8, v2
	ds_bpermute_b32 v3, v3, v2
	s_waitcnt lgkmcnt(0)
	v_add_f32_e32 v2, v2, v3
	ds_bpermute_b32 v3, v6, v2
	v_xor_b32_e32 v6, 2, v4
	v_cmp_gt_i32_e32 vcc_lo, 32, v6
	v_cndmask_b32_e32 v6, v4, v6, vcc_lo
	v_lshlrev_b32_e32 v6, 2, v6
	s_waitcnt lgkmcnt(0)
	v_add_f32_e32 v2, v2, v3
	ds_bpermute_b32 v3, v6, v2
	v_xor_b32_e32 v6, 1, v4
	v_cmp_gt_i32_e32 vcc_lo, 32, v6
	v_cndmask_b32_e32 v6, v4, v6, vcc_lo
	v_lshlrev_b32_e32 v6, 2, v6
	s_waitcnt lgkmcnt(0)
	v_add_f32_e32 v2, v2, v3
	ds_bpermute_b32 v3, v6, v2
	v_max_f32_e64 v6, s14, s14
	s_waitcnt lgkmcnt(0)
	v_add_f32_e32 v2, v2, v3
	v_max_f32_e32 v2, v2, v6
	v_div_scale_f32 v3, null, v2, v2, 1.0
	v_rcp_f32_e32 v6, v3
	v_fma_f32 v7, -v3, v6, 1.0
	v_fmac_f32_e32 v6, v7, v6
	v_div_scale_f32 v7, vcc_lo, 1.0, v2, 1.0
	v_mul_f32_e32 v8, v7, v6
	v_fma_f32 v9, -v3, v8, v7
	v_fmac_f32_e32 v8, v9, v6
	v_fma_f32 v3, -v3, v8, v7
	v_div_fmas_f32 v3, v3, v6, v8
	v_div_fixup_f32 v2, v3, v2, 1.0
	v_mul_f32_e32 v5, v2, v5
	v_cmp_gt_i32_e64 s1, s13, v0
	s_andn2_b32 vcc_lo, exec_lo, s0
	s_cbranch_vccnz .LBB0_41
.LBB0_45:
	v_xor_b32_e32 v3, 16, v4
	v_max_f32_e32 v2, v5, v5
	v_xor_b32_e32 v7, 8, v4
	v_xor_b32_e32 v8, 4, v4
	;; [unrolled: 1-line block ×3, first 2 shown]
	v_cmp_gt_i32_e32 vcc_lo, 32, v3
	v_max_f32_e32 v2, 0xff800000, v2
	v_xor_b32_e32 v10, 1, v4
	v_cndmask_b32_e32 v3, v4, v3, vcc_lo
	v_cndmask_b32_e64 v2, 0xff800000, v2, s1
	v_cmp_gt_i32_e32 vcc_lo, 32, v7
	v_lshlrev_b32_e32 v3, 2, v3
	v_cndmask_b32_e32 v7, v4, v7, vcc_lo
	v_cmp_gt_i32_e32 vcc_lo, 32, v8
	ds_bpermute_b32 v6, v3, v2
	v_lshlrev_b32_e32 v7, 2, v7
	v_cndmask_b32_e32 v8, v4, v8, vcc_lo
	v_cmp_gt_i32_e32 vcc_lo, 32, v9
	v_lshlrev_b32_e32 v8, 2, v8
	v_cndmask_b32_e32 v9, v4, v9, vcc_lo
	v_cmp_gt_i32_e32 vcc_lo, 32, v10
	v_lshlrev_b32_e32 v9, 2, v9
	v_cndmask_b32_e32 v4, v4, v10, vcc_lo
	v_lshlrev_b32_e32 v4, 2, v4
	s_waitcnt lgkmcnt(0)
	v_max_f32_e32 v6, v6, v6
	v_max_f32_e32 v2, v2, v6
	ds_bpermute_b32 v6, v7, v2
	s_waitcnt lgkmcnt(0)
	v_max_f32_e32 v6, v6, v6
	v_max_f32_e32 v2, v2, v6
	ds_bpermute_b32 v6, v8, v2
	;; [unrolled: 4-line block ×4, first 2 shown]
	s_waitcnt lgkmcnt(0)
	v_max_f32_e32 v6, v6, v6
	v_max_f32_e32 v2, v2, v6
	v_sub_f32_e32 v2, v5, v2
	v_mul_f32_e32 v5, 0x3fb8aa3b, v2
	v_cmp_ngt_f32_e32 vcc_lo, 0xc2ce8ed0, v2
	v_fma_f32 v6, 0x3fb8aa3b, v2, -v5
	v_rndne_f32_e32 v10, v5
	v_fmamk_f32 v6, v2, 0x32a5705f, v6
	v_sub_f32_e32 v5, v5, v10
	v_add_f32_e32 v5, v5, v6
	v_cvt_i32_f32_e32 v6, v10
	v_exp_f32_e32 v5, v5
	v_ldexp_f32 v5, v5, v6
	v_cndmask_b32_e32 v5, 0, v5, vcc_lo
	v_cmp_nlt_f32_e32 vcc_lo, 0x42b17218, v2
	v_cndmask_b32_e32 v2, 0x7f800000, v5, vcc_lo
	v_cndmask_b32_e64 v5, 0, v2, s1
	ds_bpermute_b32 v3, v3, v5
	s_waitcnt lgkmcnt(0)
	v_add_f32_e32 v3, v5, v3
	ds_bpermute_b32 v5, v7, v3
	s_waitcnt lgkmcnt(0)
	v_add_f32_e32 v3, v3, v5
	;; [unrolled: 3-line block ×4, first 2 shown]
	v_mov_b32_e32 v5, 0
	ds_bpermute_b32 v4, v4, v3
	s_and_saveexec_b32 s0, s1
	s_cbranch_execz .LBB0_47
; %bb.46:
	s_waitcnt lgkmcnt(0)
	v_add_f32_e32 v3, v3, v4
	v_div_scale_f32 v4, null, v3, v3, 1.0
	v_rcp_f32_e32 v5, v4
	v_fma_f32 v6, -v4, v5, 1.0
	v_fmac_f32_e32 v5, v6, v5
	v_div_scale_f32 v6, vcc_lo, 1.0, v3, 1.0
	v_mul_f32_e32 v7, v6, v5
	v_fma_f32 v8, -v4, v7, v6
	v_fmac_f32_e32 v7, v8, v5
	v_fma_f32 v4, -v4, v7, v6
	v_div_fmas_f32 v4, v4, v5, v7
	v_div_fixup_f32 v3, v4, v3, 1.0
	v_mul_f32_e32 v5, v2, v3
.LBB0_47:
	s_or_b32 exec_lo, exec_lo, s0
	v_cmp_gt_i32_e32 vcc_lo, s13, v0
	s_and_b32 exec_lo, exec_lo, vcc_lo
	s_cbranch_execnz .LBB0_42
	s_branch .LBB0_43
	.section	.rodata,"a",@progbits
	.p2align	6, 0x0
	.amdhsa_kernel _Z13topk_moe_cudaILi1ELb1EEvPKfPfPiS2_iiff15topk_moe_config
		.amdhsa_group_segment_fixed_size 0
		.amdhsa_private_segment_fixed_size 0
		.amdhsa_kernarg_size 312
		.amdhsa_user_sgpr_count 6
		.amdhsa_user_sgpr_private_segment_buffer 1
		.amdhsa_user_sgpr_dispatch_ptr 0
		.amdhsa_user_sgpr_queue_ptr 0
		.amdhsa_user_sgpr_kernarg_segment_ptr 1
		.amdhsa_user_sgpr_dispatch_id 0
		.amdhsa_user_sgpr_flat_scratch_init 0
		.amdhsa_user_sgpr_private_segment_size 0
		.amdhsa_wavefront_size32 1
		.amdhsa_uses_dynamic_stack 0
		.amdhsa_system_sgpr_private_segment_wavefront_offset 0
		.amdhsa_system_sgpr_workgroup_id_x 1
		.amdhsa_system_sgpr_workgroup_id_y 0
		.amdhsa_system_sgpr_workgroup_id_z 0
		.amdhsa_system_sgpr_workgroup_info 0
		.amdhsa_system_vgpr_workitem_id 1
		.amdhsa_next_free_vgpr 22
		.amdhsa_next_free_sgpr 16
		.amdhsa_reserve_vcc 1
		.amdhsa_reserve_flat_scratch 0
		.amdhsa_float_round_mode_32 0
		.amdhsa_float_round_mode_16_64 0
		.amdhsa_float_denorm_mode_32 3
		.amdhsa_float_denorm_mode_16_64 3
		.amdhsa_dx10_clamp 1
		.amdhsa_ieee_mode 1
		.amdhsa_fp16_overflow 0
		.amdhsa_workgroup_processor_mode 1
		.amdhsa_memory_ordered 1
		.amdhsa_forward_progress 1
		.amdhsa_shared_vgpr_count 0
		.amdhsa_exception_fp_ieee_invalid_op 0
		.amdhsa_exception_fp_denorm_src 0
		.amdhsa_exception_fp_ieee_div_zero 0
		.amdhsa_exception_fp_ieee_overflow 0
		.amdhsa_exception_fp_ieee_underflow 0
		.amdhsa_exception_fp_ieee_inexact 0
		.amdhsa_exception_int_div_zero 0
	.end_amdhsa_kernel
	.section	.text._Z13topk_moe_cudaILi1ELb1EEvPKfPfPiS2_iiff15topk_moe_config,"axG",@progbits,_Z13topk_moe_cudaILi1ELb1EEvPKfPfPiS2_iiff15topk_moe_config,comdat
.Lfunc_end0:
	.size	_Z13topk_moe_cudaILi1ELb1EEvPKfPfPiS2_iiff15topk_moe_config, .Lfunc_end0-_Z13topk_moe_cudaILi1ELb1EEvPKfPfPiS2_iiff15topk_moe_config
                                        ; -- End function
	.set _Z13topk_moe_cudaILi1ELb1EEvPKfPfPiS2_iiff15topk_moe_config.num_vgpr, 22
	.set _Z13topk_moe_cudaILi1ELb1EEvPKfPfPiS2_iiff15topk_moe_config.num_agpr, 0
	.set _Z13topk_moe_cudaILi1ELb1EEvPKfPfPiS2_iiff15topk_moe_config.numbered_sgpr, 16
	.set _Z13topk_moe_cudaILi1ELb1EEvPKfPfPiS2_iiff15topk_moe_config.num_named_barrier, 0
	.set _Z13topk_moe_cudaILi1ELb1EEvPKfPfPiS2_iiff15topk_moe_config.private_seg_size, 0
	.set _Z13topk_moe_cudaILi1ELb1EEvPKfPfPiS2_iiff15topk_moe_config.uses_vcc, 1
	.set _Z13topk_moe_cudaILi1ELb1EEvPKfPfPiS2_iiff15topk_moe_config.uses_flat_scratch, 0
	.set _Z13topk_moe_cudaILi1ELb1EEvPKfPfPiS2_iiff15topk_moe_config.has_dyn_sized_stack, 0
	.set _Z13topk_moe_cudaILi1ELb1EEvPKfPfPiS2_iiff15topk_moe_config.has_recursion, 0
	.set _Z13topk_moe_cudaILi1ELb1EEvPKfPfPiS2_iiff15topk_moe_config.has_indirect_call, 0
	.section	.AMDGPU.csdata,"",@progbits
; Kernel info:
; codeLenInByte = 2668
; TotalNumSgprs: 18
; NumVgprs: 22
; ScratchSize: 0
; MemoryBound: 0
; FloatMode: 240
; IeeeMode: 1
; LDSByteSize: 0 bytes/workgroup (compile time only)
; SGPRBlocks: 0
; VGPRBlocks: 2
; NumSGPRsForWavesPerEU: 18
; NumVGPRsForWavesPerEU: 22
; Occupancy: 16
; WaveLimiterHint : 0
; COMPUTE_PGM_RSRC2:SCRATCH_EN: 0
; COMPUTE_PGM_RSRC2:USER_SGPR: 6
; COMPUTE_PGM_RSRC2:TRAP_HANDLER: 0
; COMPUTE_PGM_RSRC2:TGID_X_EN: 1
; COMPUTE_PGM_RSRC2:TGID_Y_EN: 0
; COMPUTE_PGM_RSRC2:TGID_Z_EN: 0
; COMPUTE_PGM_RSRC2:TIDIG_COMP_CNT: 1
	.section	.text._Z13topk_moe_cudaILi2ELb1EEvPKfPfPiS2_iiff15topk_moe_config,"axG",@progbits,_Z13topk_moe_cudaILi2ELb1EEvPKfPfPiS2_iiff15topk_moe_config,comdat
	.protected	_Z13topk_moe_cudaILi2ELb1EEvPKfPfPiS2_iiff15topk_moe_config ; -- Begin function _Z13topk_moe_cudaILi2ELb1EEvPKfPfPiS2_iiff15topk_moe_config
	.globl	_Z13topk_moe_cudaILi2ELb1EEvPKfPfPiS2_iiff15topk_moe_config
	.p2align	8
	.type	_Z13topk_moe_cudaILi2ELb1EEvPKfPfPiS2_iiff15topk_moe_config,@function
_Z13topk_moe_cudaILi2ELb1EEvPKfPfPiS2_iiff15topk_moe_config: ; @_Z13topk_moe_cudaILi2ELb1EEvPKfPfPiS2_iiff15topk_moe_config
; %bb.0:
	s_clause 0x1
	s_load_dword s0, s[4:5], 0x44
	s_load_dwordx4 s[12:15], s[4:5], 0x20
	s_waitcnt lgkmcnt(0)
	s_lshr_b32 s0, s0, 16
	v_mad_u64_u32 v[1:2], null, s6, s0, v[1:2]
	s_mov_b32 s0, exec_lo
	v_cmpx_gt_i32_e64 s12, v1
	s_cbranch_execz .LBB1_43
; %bb.1:
	v_mov_b32_e32 v2, 0
	v_cmp_gt_u32_e64 s1, 2, v0
	v_mov_b32_e32 v5, 0xff800000
	v_lshlrev_b32_e32 v4, 2, v0
	s_clause 0x1
	global_load_ushort v6, v2, s[4:5] offset:48
	global_load_sbyte v7, v2, s[4:5] offset:50
	s_load_dwordx8 s[4:11], s[4:5], 0x0
	v_lshlrev_b32_e32 v2, 1, v1
	v_ashrrev_i32_e32 v3, 31, v2
	v_lshlrev_b64 v[2:3], 2, v[2:3]
	s_waitcnt vmcnt(1)
	v_readfirstlane_b32 s2, v6
	s_and_saveexec_b32 s0, s1
	s_cbranch_execz .LBB1_3
; %bb.2:
	s_waitcnt lgkmcnt(0)
	v_add_co_u32 v5, vcc_lo, s4, v2
	v_add_co_ci_u32_e64 v9, null, s5, v3, vcc_lo
	v_add_co_u32 v8, vcc_lo, v5, v4
	v_add_co_ci_u32_e64 v9, null, 0, v9, vcc_lo
	global_load_dword v5, v[8:9], off
.LBB1_3:
	s_or_b32 exec_lo, exec_lo, s0
	s_waitcnt vmcnt(0)
	v_and_b32_e32 v7, 1, v7
	v_cmp_eq_u32_e64 s0, 1, v7
	s_and_b32 vcc_lo, exec_lo, s0
	s_cbranch_vccnz .LBB1_9
; %bb.4:
	v_and_b32_e32 v6, 1, v6
	s_mov_b32 s3, 0
	v_cmp_eq_u32_e32 vcc_lo, 0, v6
	s_cbranch_vccz .LBB1_6
; %bb.5:
	v_mbcnt_lo_u32_b32 v6, -1, 0
	v_max_f32_e32 v8, v5, v5
	v_xor_b32_e32 v7, 16, v6
	v_max_f32_e32 v8, 0xff800000, v8
	v_xor_b32_e32 v10, 8, v6
	v_xor_b32_e32 v11, 4, v6
	v_xor_b32_e32 v12, 2, v6
	v_cmp_gt_i32_e32 vcc_lo, 32, v7
	v_xor_b32_e32 v13, 1, v6
	v_cndmask_b32_e32 v7, v6, v7, vcc_lo
	v_cmp_gt_i32_e32 vcc_lo, 32, v10
	v_lshlrev_b32_e32 v7, 2, v7
	v_cndmask_b32_e32 v10, v6, v10, vcc_lo
	v_cmp_gt_i32_e32 vcc_lo, 32, v11
	ds_bpermute_b32 v9, v7, v8
	v_lshlrev_b32_e32 v10, 2, v10
	v_cndmask_b32_e32 v11, v6, v11, vcc_lo
	v_cmp_gt_i32_e32 vcc_lo, 32, v12
	v_lshlrev_b32_e32 v11, 2, v11
	v_cndmask_b32_e32 v12, v6, v12, vcc_lo
	v_cmp_gt_i32_e32 vcc_lo, 32, v13
	v_lshlrev_b32_e32 v12, 2, v12
	v_cndmask_b32_e32 v6, v6, v13, vcc_lo
	v_lshlrev_b32_e32 v6, 2, v6
	s_waitcnt lgkmcnt(0)
	v_max_f32_e32 v9, v9, v9
	v_max_f32_e32 v8, v8, v9
	ds_bpermute_b32 v9, v10, v8
	s_waitcnt lgkmcnt(0)
	v_max_f32_e32 v9, v9, v9
	v_max_f32_e32 v8, v8, v9
	ds_bpermute_b32 v9, v11, v8
	;; [unrolled: 4-line block ×4, first 2 shown]
	s_waitcnt lgkmcnt(0)
	v_max_f32_e32 v9, v9, v9
	v_max_f32_e32 v8, v8, v9
	v_sub_f32_e32 v8, v5, v8
	v_mul_f32_e32 v9, 0x3fb8aa3b, v8
	v_cmp_ngt_f32_e32 vcc_lo, 0xc2ce8ed0, v8
	v_fma_f32 v13, 0x3fb8aa3b, v8, -v9
	v_rndne_f32_e32 v14, v9
	v_fmamk_f32 v13, v8, 0x32a5705f, v13
	v_sub_f32_e32 v9, v9, v14
	v_add_f32_e32 v9, v9, v13
	v_cvt_i32_f32_e32 v13, v14
	v_exp_f32_e32 v9, v9
	v_ldexp_f32 v9, v9, v13
	v_cndmask_b32_e32 v9, 0, v9, vcc_lo
	v_cmp_nlt_f32_e32 vcc_lo, 0x42b17218, v8
	v_cndmask_b32_e32 v8, 0x7f800000, v9, vcc_lo
	ds_bpermute_b32 v7, v7, v8
	s_waitcnt lgkmcnt(0)
	v_add_f32_e32 v7, v8, v7
	ds_bpermute_b32 v9, v10, v7
	s_waitcnt lgkmcnt(0)
	v_add_f32_e32 v7, v7, v9
	;; [unrolled: 3-line block ×5, first 2 shown]
	v_div_scale_f32 v7, null, v6, v6, 1.0
	v_rcp_f32_e32 v9, v7
	v_fma_f32 v10, -v7, v9, 1.0
	v_fmac_f32_e32 v9, v10, v9
	v_div_scale_f32 v10, vcc_lo, 1.0, v6, 1.0
	v_mul_f32_e32 v11, v10, v9
	v_fma_f32 v12, -v7, v11, v10
	v_fmac_f32_e32 v11, v12, v9
	v_fma_f32 v7, -v7, v11, v10
	v_div_fmas_f32 v7, v7, v9, v11
	v_div_fixup_f32 v6, v7, v6, 1.0
	v_mul_f32_e32 v6, v8, v6
	s_andn2_b32 vcc_lo, exec_lo, s3
	s_cbranch_vccz .LBB1_7
	s_branch .LBB1_8
.LBB1_6:
                                        ; implicit-def: $vgpr6
.LBB1_7:
	v_mul_f32_e32 v6, 0xbfb8aa3b, v5
	v_cmp_nlt_f32_e32 vcc_lo, 0x42ce8ed0, v5
	v_rndne_f32_e32 v7, v6
	v_fma_f32 v8, 0xbfb8aa3b, v5, -v6
	v_sub_f32_e32 v6, v6, v7
	v_fmamk_f32 v8, v5, 0xb2a5705f, v8
	v_cvt_i32_f32_e32 v7, v7
	v_add_f32_e32 v6, v6, v8
	v_exp_f32_e32 v6, v6
	v_ldexp_f32 v6, v6, v7
	v_cndmask_b32_e32 v6, 0, v6, vcc_lo
	v_cmp_ngt_f32_e32 vcc_lo, 0xc2b17218, v5
	v_cndmask_b32_e32 v5, 0x7f800000, v6, vcc_lo
	v_add_f32_e32 v5, 1.0, v5
	v_div_scale_f32 v6, null, v5, v5, 1.0
	v_rcp_f32_e32 v7, v6
	v_fma_f32 v8, -v6, v7, 1.0
	v_fmac_f32_e32 v7, v8, v7
	v_div_scale_f32 v8, vcc_lo, 1.0, v5, 1.0
	v_mul_f32_e32 v9, v8, v7
	v_fma_f32 v10, -v6, v9, v8
	v_fmac_f32_e32 v9, v10, v7
	v_fma_f32 v6, -v6, v9, v8
	v_div_fmas_f32 v6, v6, v7, v9
	v_div_fixup_f32 v6, v6, v5, 1.0
.LBB1_8:
	v_mov_b32_e32 v5, v6
.LBB1_9:
	v_cmp_o_f32_e32 vcc_lo, v5, v5
	v_mov_b32_e32 v8, 0xff800000
	v_cndmask_b32_e32 v7, 0xff7fffff, v5, vcc_lo
	s_and_saveexec_b32 s3, s1
	s_cbranch_execz .LBB1_11
; %bb.10:
	s_waitcnt lgkmcnt(0)
	global_load_dword v5, v4, s[10:11]
	s_waitcnt vmcnt(0)
	v_add_f32_e32 v8, v7, v5
.LBB1_11:
	s_or_b32 exec_lo, exec_lo, s3
	s_lshr_b32 s1, s2, 8
	s_cmp_gt_i32 s13, 0
	s_mov_b32 s3, 0
	s_cbranch_scc1 .LBB1_13
; %bb.12:
	s_bitcmp1_b32 s1, 0
	s_cselect_b32 s2, -1, 0
	s_branch .LBB1_14
.LBB1_13:
	s_mov_b32 s3, -1
                                        ; implicit-def: $sgpr2
.LBB1_14:
	v_mov_b32_e32 v9, 0
	v_mbcnt_lo_u32_b32 v5, -1, 0
	v_mov_b32_e32 v6, 0
	s_andn2_b32 vcc_lo, exec_lo, s3
	s_cbranch_vccnz .LBB1_39
; %bb.15:
	v_xor_b32_e32 v6, 16, v5
	s_waitcnt lgkmcnt(0)
	v_add_co_u32 v2, vcc_lo, s8, v2
	v_add_co_ci_u32_e64 v3, null, s9, v3, vcc_lo
	v_xor_b32_e32 v9, 8, v5
	v_cmp_gt_i32_e32 vcc_lo, 32, v6
	v_xor_b32_e32 v10, 4, v5
	v_xor_b32_e32 v11, 2, v5
	;; [unrolled: 1-line block ×3, first 2 shown]
	s_bitcmp1_b32 s1, 0
	v_cndmask_b32_e32 v6, v5, v6, vcc_lo
	v_cmp_gt_i32_e32 vcc_lo, 32, v9
	s_mov_b32 s3, 0
	s_cselect_b32 s2, -1, 0
	v_cndmask_b32_e32 v9, v5, v9, vcc_lo
	v_cmp_gt_i32_e32 vcc_lo, 32, v10
	v_cndmask_b32_e32 v13, v5, v10, vcc_lo
	v_cmp_gt_i32_e32 vcc_lo, 32, v11
	v_lshlrev_b32_e32 v10, 2, v6
	v_mov_b32_e32 v6, 0
	v_cndmask_b32_e32 v14, v5, v11, vcc_lo
	v_cmp_gt_i32_e32 vcc_lo, 32, v12
	v_lshlrev_b32_e32 v11, 2, v9
	v_mov_b32_e32 v9, 0
	v_cndmask_b32_e32 v15, v5, v12, vcc_lo
	v_lshlrev_b32_e32 v12, 2, v13
	v_lshlrev_b32_e32 v13, 2, v14
	;; [unrolled: 1-line block ×3, first 2 shown]
	s_branch .LBB1_17
.LBB1_16:                               ;   in Loop: Header=BB1_17 Depth=1
	s_or_b32 exec_lo, exec_lo, s1
	s_and_b32 s1, s3, 31
	v_cndmask_b32_e64 v8, v8, 0xff800000, vcc_lo
	v_cmp_eq_u32_e32 vcc_lo, s1, v0
	s_add_i32 s3, s3, 1
	s_cmp_eq_u32 s13, s3
	v_cndmask_b32_e32 v6, v6, v15, vcc_lo
	v_add_co_u32 v2, vcc_lo, v2, 4
	v_add_co_ci_u32_e64 v3, null, 0, v3, vcc_lo
	s_cbranch_scc1 .LBB1_39
.LBB1_17:                               ; =>This Inner Loop Header: Depth=1
	ds_bpermute_b32 v20, v10, v8
	ds_bpermute_b32 v22, v10, v7
	;; [unrolled: 1-line block ×3, first 2 shown]
	s_mov_b32 s5, exec_lo
	s_waitcnt lgkmcnt(2)
	v_cmp_lt_f32_e64 s4, v8, v20
	v_cmpx_nlt_f32_e32 v8, v20
	s_cbranch_execz .LBB1_19
; %bb.18:                               ;   in Loop: Header=BB1_17 Depth=1
	v_cmp_eq_f32_e32 vcc_lo, v8, v20
	s_waitcnt lgkmcnt(0)
	v_cmp_lt_i32_e64 s1, v21, v0
	s_andn2_b32 s4, s4, exec_lo
	s_and_b32 s1, vcc_lo, s1
	s_and_b32 s1, s1, exec_lo
	s_or_b32 s4, s4, s1
.LBB1_19:                               ;   in Loop: Header=BB1_17 Depth=1
	s_or_b32 exec_lo, exec_lo, s5
	v_mov_b32_e32 v17, v8
	v_mov_b32_e32 v18, v7
	;; [unrolled: 1-line block ×5, first 2 shown]
	s_and_saveexec_b32 s1, s4
	s_cbranch_execz .LBB1_21
; %bb.20:                               ;   in Loop: Header=BB1_17 Depth=1
	v_mov_b32_e32 v17, v20
	s_waitcnt lgkmcnt(1)
	v_mov_b32_e32 v18, v22
	v_mov_b32_e32 v15, v22
	s_waitcnt lgkmcnt(0)
	v_mov_b32_e32 v16, v21
	v_mov_b32_e32 v19, v20
.LBB1_21:                               ;   in Loop: Header=BB1_17 Depth=1
	s_or_b32 exec_lo, exec_lo, s1
	ds_bpermute_b32 v20, v11, v17
	s_waitcnt lgkmcnt(2)
	ds_bpermute_b32 v22, v11, v18
	s_waitcnt lgkmcnt(2)
	ds_bpermute_b32 v21, v11, v16
	s_mov_b32 s5, exec_lo
	s_waitcnt lgkmcnt(2)
	v_cmp_lt_f32_e64 s4, v19, v20
	v_cmpx_nlt_f32_e32 v19, v20
	s_cbranch_execz .LBB1_23
; %bb.22:                               ;   in Loop: Header=BB1_17 Depth=1
	v_cmp_eq_f32_e32 vcc_lo, v19, v20
	s_waitcnt lgkmcnt(0)
	v_cmp_lt_i32_e64 s1, v21, v16
	s_andn2_b32 s4, s4, exec_lo
	s_and_b32 s1, vcc_lo, s1
	s_and_b32 s1, s1, exec_lo
	s_or_b32 s4, s4, s1
.LBB1_23:                               ;   in Loop: Header=BB1_17 Depth=1
	s_or_b32 exec_lo, exec_lo, s5
	s_and_saveexec_b32 s1, s4
	s_cbranch_execz .LBB1_25
; %bb.24:                               ;   in Loop: Header=BB1_17 Depth=1
	v_mov_b32_e32 v17, v20
	s_waitcnt lgkmcnt(1)
	v_mov_b32_e32 v18, v22
	v_mov_b32_e32 v15, v22
	s_waitcnt lgkmcnt(0)
	v_mov_b32_e32 v16, v21
	v_mov_b32_e32 v19, v20
.LBB1_25:                               ;   in Loop: Header=BB1_17 Depth=1
	s_or_b32 exec_lo, exec_lo, s1
	ds_bpermute_b32 v20, v12, v17
	s_waitcnt lgkmcnt(2)
	ds_bpermute_b32 v22, v12, v18
	s_waitcnt lgkmcnt(2)
	ds_bpermute_b32 v21, v12, v16
	s_mov_b32 s5, exec_lo
	s_waitcnt lgkmcnt(2)
	v_cmp_lt_f32_e64 s4, v19, v20
	v_cmpx_nlt_f32_e32 v19, v20
	s_cbranch_execz .LBB1_27
; %bb.26:                               ;   in Loop: Header=BB1_17 Depth=1
	v_cmp_eq_f32_e32 vcc_lo, v19, v20
	s_waitcnt lgkmcnt(0)
	v_cmp_lt_i32_e64 s1, v21, v16
	s_andn2_b32 s4, s4, exec_lo
	s_and_b32 s1, vcc_lo, s1
	s_and_b32 s1, s1, exec_lo
	s_or_b32 s4, s4, s1
.LBB1_27:                               ;   in Loop: Header=BB1_17 Depth=1
	s_or_b32 exec_lo, exec_lo, s5
	;; [unrolled: 32-line block ×3, first 2 shown]
	s_and_saveexec_b32 s1, s4
	s_cbranch_execz .LBB1_33
; %bb.32:                               ;   in Loop: Header=BB1_17 Depth=1
	v_mov_b32_e32 v17, v20
	s_waitcnt lgkmcnt(1)
	v_mov_b32_e32 v18, v22
	v_mov_b32_e32 v15, v22
	s_waitcnt lgkmcnt(0)
	v_mov_b32_e32 v16, v21
	v_mov_b32_e32 v19, v20
.LBB1_33:                               ;   in Loop: Header=BB1_17 Depth=1
	s_or_b32 exec_lo, exec_lo, s1
	ds_bpermute_b32 v20, v14, v17
	ds_bpermute_b32 v18, v14, v18
	;; [unrolled: 1-line block ×3, first 2 shown]
	s_mov_b32 s5, exec_lo
	s_waitcnt lgkmcnt(2)
	v_cmp_lt_f32_e64 s4, v19, v20
	v_cmpx_nlt_f32_e32 v19, v20
	s_cbranch_execz .LBB1_35
; %bb.34:                               ;   in Loop: Header=BB1_17 Depth=1
	v_cmp_eq_f32_e32 vcc_lo, v19, v20
	s_waitcnt lgkmcnt(0)
	v_cmp_lt_i32_e64 s1, v17, v16
	s_andn2_b32 s4, s4, exec_lo
	s_and_b32 s1, vcc_lo, s1
	s_and_b32 s1, s1, exec_lo
	s_or_b32 s4, s4, s1
.LBB1_35:                               ;   in Loop: Header=BB1_17 Depth=1
	s_or_b32 exec_lo, exec_lo, s5
	s_and_saveexec_b32 s1, s4
	s_cbranch_execz .LBB1_37
; %bb.36:                               ;   in Loop: Header=BB1_17 Depth=1
	s_waitcnt lgkmcnt(1)
	v_mov_b32_e32 v15, v18
	s_waitcnt lgkmcnt(0)
	v_mov_b32_e32 v16, v17
.LBB1_37:                               ;   in Loop: Header=BB1_17 Depth=1
	s_or_b32 exec_lo, exec_lo, s1
	s_waitcnt lgkmcnt(0)
	v_and_b32_e32 v17, 31, v16
	v_cmp_eq_u32_e32 vcc_lo, v17, v0
	s_and_saveexec_b32 s1, vcc_lo
	s_cbranch_execz .LBB1_16
; %bb.38:                               ;   in Loop: Header=BB1_17 Depth=1
	v_add_f32_e32 v17, v9, v15
	global_store_dword v[2:3], v16, off
	v_cndmask_b32_e64 v9, v9, v17, s2
	s_branch .LBB1_16
.LBB1_39:
	s_and_b32 vcc_lo, exec_lo, s2
	s_cbranch_vccnz .LBB1_44
; %bb.40:
	v_cmp_gt_i32_e64 s1, s13, v0
	s_andn2_b32 vcc_lo, exec_lo, s0
	s_cbranch_vccz .LBB1_45
.LBB1_41:
	v_cmp_gt_i32_e32 vcc_lo, s13, v0
	s_and_b32 exec_lo, exec_lo, vcc_lo
	s_cbranch_execz .LBB1_43
.LBB1_42:
	v_mul_lo_u32 v0, v1, s13
	v_mul_f32_e32 v2, s15, v6
	v_ashrrev_i32_e32 v1, 31, v0
	v_lshlrev_b64 v[0:1], 2, v[0:1]
	s_waitcnt lgkmcnt(0)
	v_add_co_u32 v0, vcc_lo, s6, v0
	v_add_co_ci_u32_e64 v1, null, s7, v1, vcc_lo
	v_add_co_u32 v0, vcc_lo, v0, v4
	v_add_co_ci_u32_e64 v1, null, 0, v1, vcc_lo
	global_store_dword v[0:1], v2, off
.LBB1_43:
	s_endpgm
.LBB1_44:
	v_xor_b32_e32 v2, 16, v5
	v_xor_b32_e32 v3, 8, v5
	;; [unrolled: 1-line block ×3, first 2 shown]
	v_cmp_gt_i32_e32 vcc_lo, 32, v2
	v_cndmask_b32_e32 v2, v5, v2, vcc_lo
	v_cmp_gt_i32_e32 vcc_lo, 32, v3
	v_lshlrev_b32_e32 v2, 2, v2
	v_cndmask_b32_e32 v3, v5, v3, vcc_lo
	v_cmp_gt_i32_e32 vcc_lo, 32, v7
	ds_bpermute_b32 v2, v2, v9
	v_lshlrev_b32_e32 v3, 2, v3
	v_cndmask_b32_e32 v7, v5, v7, vcc_lo
	v_lshlrev_b32_e32 v7, 2, v7
	s_waitcnt lgkmcnt(0)
	v_add_f32_e32 v2, v9, v2
	ds_bpermute_b32 v3, v3, v2
	s_waitcnt lgkmcnt(0)
	v_add_f32_e32 v2, v2, v3
	ds_bpermute_b32 v3, v7, v2
	v_xor_b32_e32 v7, 2, v5
	v_cmp_gt_i32_e32 vcc_lo, 32, v7
	v_cndmask_b32_e32 v7, v5, v7, vcc_lo
	v_lshlrev_b32_e32 v7, 2, v7
	s_waitcnt lgkmcnt(0)
	v_add_f32_e32 v2, v2, v3
	ds_bpermute_b32 v3, v7, v2
	v_xor_b32_e32 v7, 1, v5
	v_cmp_gt_i32_e32 vcc_lo, 32, v7
	v_cndmask_b32_e32 v7, v5, v7, vcc_lo
	v_lshlrev_b32_e32 v7, 2, v7
	s_waitcnt lgkmcnt(0)
	v_add_f32_e32 v2, v2, v3
	ds_bpermute_b32 v3, v7, v2
	v_max_f32_e64 v7, s14, s14
	s_waitcnt lgkmcnt(0)
	v_add_f32_e32 v2, v2, v3
	v_max_f32_e32 v2, v2, v7
	v_div_scale_f32 v3, null, v2, v2, 1.0
	v_rcp_f32_e32 v7, v3
	v_fma_f32 v8, -v3, v7, 1.0
	v_fmac_f32_e32 v7, v8, v7
	v_div_scale_f32 v8, vcc_lo, 1.0, v2, 1.0
	v_mul_f32_e32 v9, v8, v7
	v_fma_f32 v10, -v3, v9, v8
	v_fmac_f32_e32 v9, v10, v7
	v_fma_f32 v3, -v3, v9, v8
	v_div_fmas_f32 v3, v3, v7, v9
	v_div_fixup_f32 v2, v3, v2, 1.0
	v_mul_f32_e32 v6, v2, v6
	v_cmp_gt_i32_e64 s1, s13, v0
	s_andn2_b32 vcc_lo, exec_lo, s0
	s_cbranch_vccnz .LBB1_41
.LBB1_45:
	v_xor_b32_e32 v3, 16, v5
	v_max_f32_e32 v2, v6, v6
	v_xor_b32_e32 v8, 8, v5
	v_xor_b32_e32 v9, 4, v5
	;; [unrolled: 1-line block ×3, first 2 shown]
	v_cmp_gt_i32_e32 vcc_lo, 32, v3
	v_max_f32_e32 v2, 0xff800000, v2
	v_xor_b32_e32 v11, 1, v5
	v_cndmask_b32_e32 v3, v5, v3, vcc_lo
	v_cndmask_b32_e64 v2, 0xff800000, v2, s1
	v_cmp_gt_i32_e32 vcc_lo, 32, v8
	v_lshlrev_b32_e32 v3, 2, v3
	v_cndmask_b32_e32 v8, v5, v8, vcc_lo
	v_cmp_gt_i32_e32 vcc_lo, 32, v9
	ds_bpermute_b32 v7, v3, v2
	v_lshlrev_b32_e32 v8, 2, v8
	v_cndmask_b32_e32 v9, v5, v9, vcc_lo
	v_cmp_gt_i32_e32 vcc_lo, 32, v10
	v_lshlrev_b32_e32 v9, 2, v9
	v_cndmask_b32_e32 v10, v5, v10, vcc_lo
	v_cmp_gt_i32_e32 vcc_lo, 32, v11
	v_lshlrev_b32_e32 v10, 2, v10
	v_cndmask_b32_e32 v5, v5, v11, vcc_lo
	v_lshlrev_b32_e32 v5, 2, v5
	s_waitcnt lgkmcnt(0)
	v_max_f32_e32 v7, v7, v7
	v_max_f32_e32 v2, v2, v7
	ds_bpermute_b32 v7, v8, v2
	s_waitcnt lgkmcnt(0)
	v_max_f32_e32 v7, v7, v7
	v_max_f32_e32 v2, v2, v7
	ds_bpermute_b32 v7, v9, v2
	;; [unrolled: 4-line block ×4, first 2 shown]
	s_waitcnt lgkmcnt(0)
	v_max_f32_e32 v7, v7, v7
	v_max_f32_e32 v2, v2, v7
	v_sub_f32_e32 v2, v6, v2
	v_mul_f32_e32 v6, 0x3fb8aa3b, v2
	v_cmp_ngt_f32_e32 vcc_lo, 0xc2ce8ed0, v2
	v_fma_f32 v7, 0x3fb8aa3b, v2, -v6
	v_rndne_f32_e32 v11, v6
	v_fmamk_f32 v7, v2, 0x32a5705f, v7
	v_sub_f32_e32 v6, v6, v11
	v_add_f32_e32 v6, v6, v7
	v_cvt_i32_f32_e32 v7, v11
	v_exp_f32_e32 v6, v6
	v_ldexp_f32 v6, v6, v7
	v_cndmask_b32_e32 v6, 0, v6, vcc_lo
	v_cmp_nlt_f32_e32 vcc_lo, 0x42b17218, v2
	v_cndmask_b32_e32 v2, 0x7f800000, v6, vcc_lo
	v_cndmask_b32_e64 v6, 0, v2, s1
	ds_bpermute_b32 v3, v3, v6
	s_waitcnt lgkmcnt(0)
	v_add_f32_e32 v3, v6, v3
	ds_bpermute_b32 v6, v8, v3
	s_waitcnt lgkmcnt(0)
	v_add_f32_e32 v3, v3, v6
	;; [unrolled: 3-line block ×4, first 2 shown]
	v_mov_b32_e32 v6, 0
	ds_bpermute_b32 v5, v5, v3
	s_and_saveexec_b32 s0, s1
	s_cbranch_execz .LBB1_47
; %bb.46:
	s_waitcnt lgkmcnt(0)
	v_add_f32_e32 v3, v3, v5
	v_div_scale_f32 v5, null, v3, v3, 1.0
	v_rcp_f32_e32 v6, v5
	v_fma_f32 v7, -v5, v6, 1.0
	v_fmac_f32_e32 v6, v7, v6
	v_div_scale_f32 v7, vcc_lo, 1.0, v3, 1.0
	v_mul_f32_e32 v8, v7, v6
	v_fma_f32 v9, -v5, v8, v7
	v_fmac_f32_e32 v8, v9, v6
	v_fma_f32 v5, -v5, v8, v7
	v_div_fmas_f32 v5, v5, v6, v8
	v_div_fixup_f32 v3, v5, v3, 1.0
	v_mul_f32_e32 v6, v2, v3
.LBB1_47:
	s_or_b32 exec_lo, exec_lo, s0
	v_cmp_gt_i32_e32 vcc_lo, s13, v0
	s_and_b32 exec_lo, exec_lo, vcc_lo
	s_cbranch_execnz .LBB1_42
	s_branch .LBB1_43
	.section	.rodata,"a",@progbits
	.p2align	6, 0x0
	.amdhsa_kernel _Z13topk_moe_cudaILi2ELb1EEvPKfPfPiS2_iiff15topk_moe_config
		.amdhsa_group_segment_fixed_size 0
		.amdhsa_private_segment_fixed_size 0
		.amdhsa_kernarg_size 312
		.amdhsa_user_sgpr_count 6
		.amdhsa_user_sgpr_private_segment_buffer 1
		.amdhsa_user_sgpr_dispatch_ptr 0
		.amdhsa_user_sgpr_queue_ptr 0
		.amdhsa_user_sgpr_kernarg_segment_ptr 1
		.amdhsa_user_sgpr_dispatch_id 0
		.amdhsa_user_sgpr_flat_scratch_init 0
		.amdhsa_user_sgpr_private_segment_size 0
		.amdhsa_wavefront_size32 1
		.amdhsa_uses_dynamic_stack 0
		.amdhsa_system_sgpr_private_segment_wavefront_offset 0
		.amdhsa_system_sgpr_workgroup_id_x 1
		.amdhsa_system_sgpr_workgroup_id_y 0
		.amdhsa_system_sgpr_workgroup_id_z 0
		.amdhsa_system_sgpr_workgroup_info 0
		.amdhsa_system_vgpr_workitem_id 1
		.amdhsa_next_free_vgpr 23
		.amdhsa_next_free_sgpr 16
		.amdhsa_reserve_vcc 1
		.amdhsa_reserve_flat_scratch 0
		.amdhsa_float_round_mode_32 0
		.amdhsa_float_round_mode_16_64 0
		.amdhsa_float_denorm_mode_32 3
		.amdhsa_float_denorm_mode_16_64 3
		.amdhsa_dx10_clamp 1
		.amdhsa_ieee_mode 1
		.amdhsa_fp16_overflow 0
		.amdhsa_workgroup_processor_mode 1
		.amdhsa_memory_ordered 1
		.amdhsa_forward_progress 1
		.amdhsa_shared_vgpr_count 0
		.amdhsa_exception_fp_ieee_invalid_op 0
		.amdhsa_exception_fp_denorm_src 0
		.amdhsa_exception_fp_ieee_div_zero 0
		.amdhsa_exception_fp_ieee_overflow 0
		.amdhsa_exception_fp_ieee_underflow 0
		.amdhsa_exception_fp_ieee_inexact 0
		.amdhsa_exception_int_div_zero 0
	.end_amdhsa_kernel
	.section	.text._Z13topk_moe_cudaILi2ELb1EEvPKfPfPiS2_iiff15topk_moe_config,"axG",@progbits,_Z13topk_moe_cudaILi2ELb1EEvPKfPfPiS2_iiff15topk_moe_config,comdat
.Lfunc_end1:
	.size	_Z13topk_moe_cudaILi2ELb1EEvPKfPfPiS2_iiff15topk_moe_config, .Lfunc_end1-_Z13topk_moe_cudaILi2ELb1EEvPKfPfPiS2_iiff15topk_moe_config
                                        ; -- End function
	.set _Z13topk_moe_cudaILi2ELb1EEvPKfPfPiS2_iiff15topk_moe_config.num_vgpr, 23
	.set _Z13topk_moe_cudaILi2ELb1EEvPKfPfPiS2_iiff15topk_moe_config.num_agpr, 0
	.set _Z13topk_moe_cudaILi2ELb1EEvPKfPfPiS2_iiff15topk_moe_config.numbered_sgpr, 16
	.set _Z13topk_moe_cudaILi2ELb1EEvPKfPfPiS2_iiff15topk_moe_config.num_named_barrier, 0
	.set _Z13topk_moe_cudaILi2ELb1EEvPKfPfPiS2_iiff15topk_moe_config.private_seg_size, 0
	.set _Z13topk_moe_cudaILi2ELb1EEvPKfPfPiS2_iiff15topk_moe_config.uses_vcc, 1
	.set _Z13topk_moe_cudaILi2ELb1EEvPKfPfPiS2_iiff15topk_moe_config.uses_flat_scratch, 0
	.set _Z13topk_moe_cudaILi2ELb1EEvPKfPfPiS2_iiff15topk_moe_config.has_dyn_sized_stack, 0
	.set _Z13topk_moe_cudaILi2ELb1EEvPKfPfPiS2_iiff15topk_moe_config.has_recursion, 0
	.set _Z13topk_moe_cudaILi2ELb1EEvPKfPfPiS2_iiff15topk_moe_config.has_indirect_call, 0
	.section	.AMDGPU.csdata,"",@progbits
; Kernel info:
; codeLenInByte = 2688
; TotalNumSgprs: 18
; NumVgprs: 23
; ScratchSize: 0
; MemoryBound: 0
; FloatMode: 240
; IeeeMode: 1
; LDSByteSize: 0 bytes/workgroup (compile time only)
; SGPRBlocks: 0
; VGPRBlocks: 2
; NumSGPRsForWavesPerEU: 18
; NumVGPRsForWavesPerEU: 23
; Occupancy: 16
; WaveLimiterHint : 0
; COMPUTE_PGM_RSRC2:SCRATCH_EN: 0
; COMPUTE_PGM_RSRC2:USER_SGPR: 6
; COMPUTE_PGM_RSRC2:TRAP_HANDLER: 0
; COMPUTE_PGM_RSRC2:TGID_X_EN: 1
; COMPUTE_PGM_RSRC2:TGID_Y_EN: 0
; COMPUTE_PGM_RSRC2:TGID_Z_EN: 0
; COMPUTE_PGM_RSRC2:TIDIG_COMP_CNT: 1
	.section	.text._Z13topk_moe_cudaILi4ELb1EEvPKfPfPiS2_iiff15topk_moe_config,"axG",@progbits,_Z13topk_moe_cudaILi4ELb1EEvPKfPfPiS2_iiff15topk_moe_config,comdat
	.protected	_Z13topk_moe_cudaILi4ELb1EEvPKfPfPiS2_iiff15topk_moe_config ; -- Begin function _Z13topk_moe_cudaILi4ELb1EEvPKfPfPiS2_iiff15topk_moe_config
	.globl	_Z13topk_moe_cudaILi4ELb1EEvPKfPfPiS2_iiff15topk_moe_config
	.p2align	8
	.type	_Z13topk_moe_cudaILi4ELb1EEvPKfPfPiS2_iiff15topk_moe_config,@function
_Z13topk_moe_cudaILi4ELb1EEvPKfPfPiS2_iiff15topk_moe_config: ; @_Z13topk_moe_cudaILi4ELb1EEvPKfPfPiS2_iiff15topk_moe_config
; %bb.0:
	s_clause 0x1
	s_load_dword s0, s[4:5], 0x44
	s_load_dwordx4 s[12:15], s[4:5], 0x20
	s_waitcnt lgkmcnt(0)
	s_lshr_b32 s0, s0, 16
	v_mad_u64_u32 v[1:2], null, s6, s0, v[1:2]
	s_mov_b32 s0, exec_lo
	v_cmpx_gt_i32_e64 s12, v1
	s_cbranch_execz .LBB2_43
; %bb.1:
	v_mov_b32_e32 v2, 0
	v_cmp_gt_u32_e64 s1, 4, v0
	v_mov_b32_e32 v5, 0xff800000
	v_lshlrev_b32_e32 v4, 2, v0
	s_clause 0x1
	global_load_ushort v6, v2, s[4:5] offset:48
	global_load_sbyte v7, v2, s[4:5] offset:50
	s_load_dwordx8 s[4:11], s[4:5], 0x0
	v_lshlrev_b32_e32 v2, 2, v1
	v_ashrrev_i32_e32 v3, 31, v2
	v_lshlrev_b64 v[2:3], 2, v[2:3]
	s_waitcnt vmcnt(1)
	v_readfirstlane_b32 s2, v6
	s_and_saveexec_b32 s0, s1
	s_cbranch_execz .LBB2_3
; %bb.2:
	s_waitcnt lgkmcnt(0)
	v_add_co_u32 v5, vcc_lo, s4, v2
	v_add_co_ci_u32_e64 v9, null, s5, v3, vcc_lo
	v_add_co_u32 v8, vcc_lo, v5, v4
	v_add_co_ci_u32_e64 v9, null, 0, v9, vcc_lo
	global_load_dword v5, v[8:9], off
.LBB2_3:
	s_or_b32 exec_lo, exec_lo, s0
	s_waitcnt vmcnt(0)
	v_and_b32_e32 v7, 1, v7
	v_cmp_eq_u32_e64 s0, 1, v7
	s_and_b32 vcc_lo, exec_lo, s0
	s_cbranch_vccnz .LBB2_9
; %bb.4:
	v_and_b32_e32 v6, 1, v6
	s_mov_b32 s3, 0
	v_cmp_eq_u32_e32 vcc_lo, 0, v6
	s_cbranch_vccz .LBB2_6
; %bb.5:
	v_mbcnt_lo_u32_b32 v6, -1, 0
	v_max_f32_e32 v8, v5, v5
	v_xor_b32_e32 v7, 16, v6
	v_max_f32_e32 v8, 0xff800000, v8
	v_xor_b32_e32 v10, 8, v6
	v_xor_b32_e32 v11, 4, v6
	;; [unrolled: 1-line block ×3, first 2 shown]
	v_cmp_gt_i32_e32 vcc_lo, 32, v7
	v_xor_b32_e32 v13, 1, v6
	v_cndmask_b32_e32 v7, v6, v7, vcc_lo
	v_cmp_gt_i32_e32 vcc_lo, 32, v10
	v_lshlrev_b32_e32 v7, 2, v7
	v_cndmask_b32_e32 v10, v6, v10, vcc_lo
	v_cmp_gt_i32_e32 vcc_lo, 32, v11
	ds_bpermute_b32 v9, v7, v8
	v_lshlrev_b32_e32 v10, 2, v10
	v_cndmask_b32_e32 v11, v6, v11, vcc_lo
	v_cmp_gt_i32_e32 vcc_lo, 32, v12
	v_lshlrev_b32_e32 v11, 2, v11
	v_cndmask_b32_e32 v12, v6, v12, vcc_lo
	v_cmp_gt_i32_e32 vcc_lo, 32, v13
	v_lshlrev_b32_e32 v12, 2, v12
	v_cndmask_b32_e32 v6, v6, v13, vcc_lo
	v_lshlrev_b32_e32 v6, 2, v6
	s_waitcnt lgkmcnt(0)
	v_max_f32_e32 v9, v9, v9
	v_max_f32_e32 v8, v8, v9
	ds_bpermute_b32 v9, v10, v8
	s_waitcnt lgkmcnt(0)
	v_max_f32_e32 v9, v9, v9
	v_max_f32_e32 v8, v8, v9
	ds_bpermute_b32 v9, v11, v8
	;; [unrolled: 4-line block ×4, first 2 shown]
	s_waitcnt lgkmcnt(0)
	v_max_f32_e32 v9, v9, v9
	v_max_f32_e32 v8, v8, v9
	v_sub_f32_e32 v8, v5, v8
	v_mul_f32_e32 v9, 0x3fb8aa3b, v8
	v_cmp_ngt_f32_e32 vcc_lo, 0xc2ce8ed0, v8
	v_fma_f32 v13, 0x3fb8aa3b, v8, -v9
	v_rndne_f32_e32 v14, v9
	v_fmamk_f32 v13, v8, 0x32a5705f, v13
	v_sub_f32_e32 v9, v9, v14
	v_add_f32_e32 v9, v9, v13
	v_cvt_i32_f32_e32 v13, v14
	v_exp_f32_e32 v9, v9
	v_ldexp_f32 v9, v9, v13
	v_cndmask_b32_e32 v9, 0, v9, vcc_lo
	v_cmp_nlt_f32_e32 vcc_lo, 0x42b17218, v8
	v_cndmask_b32_e32 v8, 0x7f800000, v9, vcc_lo
	ds_bpermute_b32 v7, v7, v8
	s_waitcnt lgkmcnt(0)
	v_add_f32_e32 v7, v8, v7
	ds_bpermute_b32 v9, v10, v7
	s_waitcnt lgkmcnt(0)
	v_add_f32_e32 v7, v7, v9
	;; [unrolled: 3-line block ×5, first 2 shown]
	v_div_scale_f32 v7, null, v6, v6, 1.0
	v_rcp_f32_e32 v9, v7
	v_fma_f32 v10, -v7, v9, 1.0
	v_fmac_f32_e32 v9, v10, v9
	v_div_scale_f32 v10, vcc_lo, 1.0, v6, 1.0
	v_mul_f32_e32 v11, v10, v9
	v_fma_f32 v12, -v7, v11, v10
	v_fmac_f32_e32 v11, v12, v9
	v_fma_f32 v7, -v7, v11, v10
	v_div_fmas_f32 v7, v7, v9, v11
	v_div_fixup_f32 v6, v7, v6, 1.0
	v_mul_f32_e32 v6, v8, v6
	s_andn2_b32 vcc_lo, exec_lo, s3
	s_cbranch_vccz .LBB2_7
	s_branch .LBB2_8
.LBB2_6:
                                        ; implicit-def: $vgpr6
.LBB2_7:
	v_mul_f32_e32 v6, 0xbfb8aa3b, v5
	v_cmp_nlt_f32_e32 vcc_lo, 0x42ce8ed0, v5
	v_rndne_f32_e32 v7, v6
	v_fma_f32 v8, 0xbfb8aa3b, v5, -v6
	v_sub_f32_e32 v6, v6, v7
	v_fmamk_f32 v8, v5, 0xb2a5705f, v8
	v_cvt_i32_f32_e32 v7, v7
	v_add_f32_e32 v6, v6, v8
	v_exp_f32_e32 v6, v6
	v_ldexp_f32 v6, v6, v7
	v_cndmask_b32_e32 v6, 0, v6, vcc_lo
	v_cmp_ngt_f32_e32 vcc_lo, 0xc2b17218, v5
	v_cndmask_b32_e32 v5, 0x7f800000, v6, vcc_lo
	v_add_f32_e32 v5, 1.0, v5
	v_div_scale_f32 v6, null, v5, v5, 1.0
	v_rcp_f32_e32 v7, v6
	v_fma_f32 v8, -v6, v7, 1.0
	v_fmac_f32_e32 v7, v8, v7
	v_div_scale_f32 v8, vcc_lo, 1.0, v5, 1.0
	v_mul_f32_e32 v9, v8, v7
	v_fma_f32 v10, -v6, v9, v8
	v_fmac_f32_e32 v9, v10, v7
	v_fma_f32 v6, -v6, v9, v8
	v_div_fmas_f32 v6, v6, v7, v9
	v_div_fixup_f32 v6, v6, v5, 1.0
.LBB2_8:
	v_mov_b32_e32 v5, v6
.LBB2_9:
	v_cmp_o_f32_e32 vcc_lo, v5, v5
	v_mov_b32_e32 v8, 0xff800000
	v_cndmask_b32_e32 v7, 0xff7fffff, v5, vcc_lo
	s_and_saveexec_b32 s3, s1
	s_cbranch_execz .LBB2_11
; %bb.10:
	s_waitcnt lgkmcnt(0)
	global_load_dword v5, v4, s[10:11]
	s_waitcnt vmcnt(0)
	v_add_f32_e32 v8, v7, v5
.LBB2_11:
	s_or_b32 exec_lo, exec_lo, s3
	s_lshr_b32 s1, s2, 8
	s_cmp_gt_i32 s13, 0
	s_mov_b32 s3, 0
	s_cbranch_scc1 .LBB2_13
; %bb.12:
	s_bitcmp1_b32 s1, 0
	s_cselect_b32 s2, -1, 0
	s_branch .LBB2_14
.LBB2_13:
	s_mov_b32 s3, -1
                                        ; implicit-def: $sgpr2
.LBB2_14:
	v_mov_b32_e32 v9, 0
	v_mbcnt_lo_u32_b32 v5, -1, 0
	v_mov_b32_e32 v6, 0
	s_andn2_b32 vcc_lo, exec_lo, s3
	s_cbranch_vccnz .LBB2_39
; %bb.15:
	v_xor_b32_e32 v6, 16, v5
	s_waitcnt lgkmcnt(0)
	v_add_co_u32 v2, vcc_lo, s8, v2
	v_add_co_ci_u32_e64 v3, null, s9, v3, vcc_lo
	v_xor_b32_e32 v9, 8, v5
	v_cmp_gt_i32_e32 vcc_lo, 32, v6
	v_xor_b32_e32 v10, 4, v5
	v_xor_b32_e32 v11, 2, v5
	v_xor_b32_e32 v12, 1, v5
	s_bitcmp1_b32 s1, 0
	v_cndmask_b32_e32 v6, v5, v6, vcc_lo
	v_cmp_gt_i32_e32 vcc_lo, 32, v9
	s_mov_b32 s3, 0
	s_cselect_b32 s2, -1, 0
	v_cndmask_b32_e32 v9, v5, v9, vcc_lo
	v_cmp_gt_i32_e32 vcc_lo, 32, v10
	v_cndmask_b32_e32 v13, v5, v10, vcc_lo
	v_cmp_gt_i32_e32 vcc_lo, 32, v11
	v_lshlrev_b32_e32 v10, 2, v6
	v_mov_b32_e32 v6, 0
	v_cndmask_b32_e32 v14, v5, v11, vcc_lo
	v_cmp_gt_i32_e32 vcc_lo, 32, v12
	v_lshlrev_b32_e32 v11, 2, v9
	v_mov_b32_e32 v9, 0
	v_cndmask_b32_e32 v15, v5, v12, vcc_lo
	v_lshlrev_b32_e32 v12, 2, v13
	v_lshlrev_b32_e32 v13, 2, v14
	;; [unrolled: 1-line block ×3, first 2 shown]
	s_branch .LBB2_17
.LBB2_16:                               ;   in Loop: Header=BB2_17 Depth=1
	s_or_b32 exec_lo, exec_lo, s1
	s_and_b32 s1, s3, 31
	v_cndmask_b32_e64 v8, v8, 0xff800000, vcc_lo
	v_cmp_eq_u32_e32 vcc_lo, s1, v0
	s_add_i32 s3, s3, 1
	s_cmp_eq_u32 s13, s3
	v_cndmask_b32_e32 v6, v6, v15, vcc_lo
	v_add_co_u32 v2, vcc_lo, v2, 4
	v_add_co_ci_u32_e64 v3, null, 0, v3, vcc_lo
	s_cbranch_scc1 .LBB2_39
.LBB2_17:                               ; =>This Inner Loop Header: Depth=1
	ds_bpermute_b32 v20, v10, v8
	ds_bpermute_b32 v22, v10, v7
	;; [unrolled: 1-line block ×3, first 2 shown]
	s_mov_b32 s5, exec_lo
	s_waitcnt lgkmcnt(2)
	v_cmp_lt_f32_e64 s4, v8, v20
	v_cmpx_nlt_f32_e32 v8, v20
	s_cbranch_execz .LBB2_19
; %bb.18:                               ;   in Loop: Header=BB2_17 Depth=1
	v_cmp_eq_f32_e32 vcc_lo, v8, v20
	s_waitcnt lgkmcnt(0)
	v_cmp_lt_i32_e64 s1, v21, v0
	s_andn2_b32 s4, s4, exec_lo
	s_and_b32 s1, vcc_lo, s1
	s_and_b32 s1, s1, exec_lo
	s_or_b32 s4, s4, s1
.LBB2_19:                               ;   in Loop: Header=BB2_17 Depth=1
	s_or_b32 exec_lo, exec_lo, s5
	v_mov_b32_e32 v17, v8
	v_mov_b32_e32 v18, v7
	;; [unrolled: 1-line block ×5, first 2 shown]
	s_and_saveexec_b32 s1, s4
	s_cbranch_execz .LBB2_21
; %bb.20:                               ;   in Loop: Header=BB2_17 Depth=1
	v_mov_b32_e32 v17, v20
	s_waitcnt lgkmcnt(1)
	v_mov_b32_e32 v18, v22
	v_mov_b32_e32 v15, v22
	s_waitcnt lgkmcnt(0)
	v_mov_b32_e32 v16, v21
	v_mov_b32_e32 v19, v20
.LBB2_21:                               ;   in Loop: Header=BB2_17 Depth=1
	s_or_b32 exec_lo, exec_lo, s1
	ds_bpermute_b32 v20, v11, v17
	s_waitcnt lgkmcnt(2)
	ds_bpermute_b32 v22, v11, v18
	s_waitcnt lgkmcnt(2)
	ds_bpermute_b32 v21, v11, v16
	s_mov_b32 s5, exec_lo
	s_waitcnt lgkmcnt(2)
	v_cmp_lt_f32_e64 s4, v19, v20
	v_cmpx_nlt_f32_e32 v19, v20
	s_cbranch_execz .LBB2_23
; %bb.22:                               ;   in Loop: Header=BB2_17 Depth=1
	v_cmp_eq_f32_e32 vcc_lo, v19, v20
	s_waitcnt lgkmcnt(0)
	v_cmp_lt_i32_e64 s1, v21, v16
	s_andn2_b32 s4, s4, exec_lo
	s_and_b32 s1, vcc_lo, s1
	s_and_b32 s1, s1, exec_lo
	s_or_b32 s4, s4, s1
.LBB2_23:                               ;   in Loop: Header=BB2_17 Depth=1
	s_or_b32 exec_lo, exec_lo, s5
	s_and_saveexec_b32 s1, s4
	s_cbranch_execz .LBB2_25
; %bb.24:                               ;   in Loop: Header=BB2_17 Depth=1
	v_mov_b32_e32 v17, v20
	s_waitcnt lgkmcnt(1)
	v_mov_b32_e32 v18, v22
	v_mov_b32_e32 v15, v22
	s_waitcnt lgkmcnt(0)
	v_mov_b32_e32 v16, v21
	v_mov_b32_e32 v19, v20
.LBB2_25:                               ;   in Loop: Header=BB2_17 Depth=1
	s_or_b32 exec_lo, exec_lo, s1
	ds_bpermute_b32 v20, v12, v17
	s_waitcnt lgkmcnt(2)
	ds_bpermute_b32 v22, v12, v18
	s_waitcnt lgkmcnt(2)
	ds_bpermute_b32 v21, v12, v16
	s_mov_b32 s5, exec_lo
	s_waitcnt lgkmcnt(2)
	v_cmp_lt_f32_e64 s4, v19, v20
	v_cmpx_nlt_f32_e32 v19, v20
	s_cbranch_execz .LBB2_27
; %bb.26:                               ;   in Loop: Header=BB2_17 Depth=1
	v_cmp_eq_f32_e32 vcc_lo, v19, v20
	s_waitcnt lgkmcnt(0)
	v_cmp_lt_i32_e64 s1, v21, v16
	s_andn2_b32 s4, s4, exec_lo
	s_and_b32 s1, vcc_lo, s1
	s_and_b32 s1, s1, exec_lo
	s_or_b32 s4, s4, s1
.LBB2_27:                               ;   in Loop: Header=BB2_17 Depth=1
	s_or_b32 exec_lo, exec_lo, s5
	;; [unrolled: 32-line block ×3, first 2 shown]
	s_and_saveexec_b32 s1, s4
	s_cbranch_execz .LBB2_33
; %bb.32:                               ;   in Loop: Header=BB2_17 Depth=1
	v_mov_b32_e32 v17, v20
	s_waitcnt lgkmcnt(1)
	v_mov_b32_e32 v18, v22
	v_mov_b32_e32 v15, v22
	s_waitcnt lgkmcnt(0)
	v_mov_b32_e32 v16, v21
	v_mov_b32_e32 v19, v20
.LBB2_33:                               ;   in Loop: Header=BB2_17 Depth=1
	s_or_b32 exec_lo, exec_lo, s1
	ds_bpermute_b32 v20, v14, v17
	ds_bpermute_b32 v18, v14, v18
	;; [unrolled: 1-line block ×3, first 2 shown]
	s_mov_b32 s5, exec_lo
	s_waitcnt lgkmcnt(2)
	v_cmp_lt_f32_e64 s4, v19, v20
	v_cmpx_nlt_f32_e32 v19, v20
	s_cbranch_execz .LBB2_35
; %bb.34:                               ;   in Loop: Header=BB2_17 Depth=1
	v_cmp_eq_f32_e32 vcc_lo, v19, v20
	s_waitcnt lgkmcnt(0)
	v_cmp_lt_i32_e64 s1, v17, v16
	s_andn2_b32 s4, s4, exec_lo
	s_and_b32 s1, vcc_lo, s1
	s_and_b32 s1, s1, exec_lo
	s_or_b32 s4, s4, s1
.LBB2_35:                               ;   in Loop: Header=BB2_17 Depth=1
	s_or_b32 exec_lo, exec_lo, s5
	s_and_saveexec_b32 s1, s4
	s_cbranch_execz .LBB2_37
; %bb.36:                               ;   in Loop: Header=BB2_17 Depth=1
	s_waitcnt lgkmcnt(1)
	v_mov_b32_e32 v15, v18
	s_waitcnt lgkmcnt(0)
	v_mov_b32_e32 v16, v17
.LBB2_37:                               ;   in Loop: Header=BB2_17 Depth=1
	s_or_b32 exec_lo, exec_lo, s1
	s_waitcnt lgkmcnt(0)
	v_and_b32_e32 v17, 31, v16
	v_cmp_eq_u32_e32 vcc_lo, v17, v0
	s_and_saveexec_b32 s1, vcc_lo
	s_cbranch_execz .LBB2_16
; %bb.38:                               ;   in Loop: Header=BB2_17 Depth=1
	v_add_f32_e32 v17, v9, v15
	global_store_dword v[2:3], v16, off
	v_cndmask_b32_e64 v9, v9, v17, s2
	s_branch .LBB2_16
.LBB2_39:
	s_and_b32 vcc_lo, exec_lo, s2
	s_cbranch_vccnz .LBB2_44
; %bb.40:
	v_cmp_gt_i32_e64 s1, s13, v0
	s_andn2_b32 vcc_lo, exec_lo, s0
	s_cbranch_vccz .LBB2_45
.LBB2_41:
	v_cmp_gt_i32_e32 vcc_lo, s13, v0
	s_and_b32 exec_lo, exec_lo, vcc_lo
	s_cbranch_execz .LBB2_43
.LBB2_42:
	v_mul_lo_u32 v0, v1, s13
	v_mul_f32_e32 v2, s15, v6
	v_ashrrev_i32_e32 v1, 31, v0
	v_lshlrev_b64 v[0:1], 2, v[0:1]
	s_waitcnt lgkmcnt(0)
	v_add_co_u32 v0, vcc_lo, s6, v0
	v_add_co_ci_u32_e64 v1, null, s7, v1, vcc_lo
	v_add_co_u32 v0, vcc_lo, v0, v4
	v_add_co_ci_u32_e64 v1, null, 0, v1, vcc_lo
	global_store_dword v[0:1], v2, off
.LBB2_43:
	s_endpgm
.LBB2_44:
	v_xor_b32_e32 v2, 16, v5
	v_xor_b32_e32 v3, 8, v5
	v_xor_b32_e32 v7, 4, v5
	v_cmp_gt_i32_e32 vcc_lo, 32, v2
	v_cndmask_b32_e32 v2, v5, v2, vcc_lo
	v_cmp_gt_i32_e32 vcc_lo, 32, v3
	v_lshlrev_b32_e32 v2, 2, v2
	v_cndmask_b32_e32 v3, v5, v3, vcc_lo
	v_cmp_gt_i32_e32 vcc_lo, 32, v7
	ds_bpermute_b32 v2, v2, v9
	v_lshlrev_b32_e32 v3, 2, v3
	v_cndmask_b32_e32 v7, v5, v7, vcc_lo
	v_lshlrev_b32_e32 v7, 2, v7
	s_waitcnt lgkmcnt(0)
	v_add_f32_e32 v2, v9, v2
	ds_bpermute_b32 v3, v3, v2
	s_waitcnt lgkmcnt(0)
	v_add_f32_e32 v2, v2, v3
	ds_bpermute_b32 v3, v7, v2
	v_xor_b32_e32 v7, 2, v5
	v_cmp_gt_i32_e32 vcc_lo, 32, v7
	v_cndmask_b32_e32 v7, v5, v7, vcc_lo
	v_lshlrev_b32_e32 v7, 2, v7
	s_waitcnt lgkmcnt(0)
	v_add_f32_e32 v2, v2, v3
	ds_bpermute_b32 v3, v7, v2
	v_xor_b32_e32 v7, 1, v5
	v_cmp_gt_i32_e32 vcc_lo, 32, v7
	v_cndmask_b32_e32 v7, v5, v7, vcc_lo
	v_lshlrev_b32_e32 v7, 2, v7
	s_waitcnt lgkmcnt(0)
	v_add_f32_e32 v2, v2, v3
	ds_bpermute_b32 v3, v7, v2
	v_max_f32_e64 v7, s14, s14
	s_waitcnt lgkmcnt(0)
	v_add_f32_e32 v2, v2, v3
	v_max_f32_e32 v2, v2, v7
	v_div_scale_f32 v3, null, v2, v2, 1.0
	v_rcp_f32_e32 v7, v3
	v_fma_f32 v8, -v3, v7, 1.0
	v_fmac_f32_e32 v7, v8, v7
	v_div_scale_f32 v8, vcc_lo, 1.0, v2, 1.0
	v_mul_f32_e32 v9, v8, v7
	v_fma_f32 v10, -v3, v9, v8
	v_fmac_f32_e32 v9, v10, v7
	v_fma_f32 v3, -v3, v9, v8
	v_div_fmas_f32 v3, v3, v7, v9
	v_div_fixup_f32 v2, v3, v2, 1.0
	v_mul_f32_e32 v6, v2, v6
	v_cmp_gt_i32_e64 s1, s13, v0
	s_andn2_b32 vcc_lo, exec_lo, s0
	s_cbranch_vccnz .LBB2_41
.LBB2_45:
	v_xor_b32_e32 v3, 16, v5
	v_max_f32_e32 v2, v6, v6
	v_xor_b32_e32 v8, 8, v5
	v_xor_b32_e32 v9, 4, v5
	v_xor_b32_e32 v10, 2, v5
	v_cmp_gt_i32_e32 vcc_lo, 32, v3
	v_max_f32_e32 v2, 0xff800000, v2
	v_xor_b32_e32 v11, 1, v5
	v_cndmask_b32_e32 v3, v5, v3, vcc_lo
	v_cndmask_b32_e64 v2, 0xff800000, v2, s1
	v_cmp_gt_i32_e32 vcc_lo, 32, v8
	v_lshlrev_b32_e32 v3, 2, v3
	v_cndmask_b32_e32 v8, v5, v8, vcc_lo
	v_cmp_gt_i32_e32 vcc_lo, 32, v9
	ds_bpermute_b32 v7, v3, v2
	v_lshlrev_b32_e32 v8, 2, v8
	v_cndmask_b32_e32 v9, v5, v9, vcc_lo
	v_cmp_gt_i32_e32 vcc_lo, 32, v10
	v_lshlrev_b32_e32 v9, 2, v9
	v_cndmask_b32_e32 v10, v5, v10, vcc_lo
	v_cmp_gt_i32_e32 vcc_lo, 32, v11
	v_lshlrev_b32_e32 v10, 2, v10
	v_cndmask_b32_e32 v5, v5, v11, vcc_lo
	v_lshlrev_b32_e32 v5, 2, v5
	s_waitcnt lgkmcnt(0)
	v_max_f32_e32 v7, v7, v7
	v_max_f32_e32 v2, v2, v7
	ds_bpermute_b32 v7, v8, v2
	s_waitcnt lgkmcnt(0)
	v_max_f32_e32 v7, v7, v7
	v_max_f32_e32 v2, v2, v7
	ds_bpermute_b32 v7, v9, v2
	;; [unrolled: 4-line block ×4, first 2 shown]
	s_waitcnt lgkmcnt(0)
	v_max_f32_e32 v7, v7, v7
	v_max_f32_e32 v2, v2, v7
	v_sub_f32_e32 v2, v6, v2
	v_mul_f32_e32 v6, 0x3fb8aa3b, v2
	v_cmp_ngt_f32_e32 vcc_lo, 0xc2ce8ed0, v2
	v_fma_f32 v7, 0x3fb8aa3b, v2, -v6
	v_rndne_f32_e32 v11, v6
	v_fmamk_f32 v7, v2, 0x32a5705f, v7
	v_sub_f32_e32 v6, v6, v11
	v_add_f32_e32 v6, v6, v7
	v_cvt_i32_f32_e32 v7, v11
	v_exp_f32_e32 v6, v6
	v_ldexp_f32 v6, v6, v7
	v_cndmask_b32_e32 v6, 0, v6, vcc_lo
	v_cmp_nlt_f32_e32 vcc_lo, 0x42b17218, v2
	v_cndmask_b32_e32 v2, 0x7f800000, v6, vcc_lo
	v_cndmask_b32_e64 v6, 0, v2, s1
	ds_bpermute_b32 v3, v3, v6
	s_waitcnt lgkmcnt(0)
	v_add_f32_e32 v3, v6, v3
	ds_bpermute_b32 v6, v8, v3
	s_waitcnt lgkmcnt(0)
	v_add_f32_e32 v3, v3, v6
	;; [unrolled: 3-line block ×4, first 2 shown]
	v_mov_b32_e32 v6, 0
	ds_bpermute_b32 v5, v5, v3
	s_and_saveexec_b32 s0, s1
	s_cbranch_execz .LBB2_47
; %bb.46:
	s_waitcnt lgkmcnt(0)
	v_add_f32_e32 v3, v3, v5
	v_div_scale_f32 v5, null, v3, v3, 1.0
	v_rcp_f32_e32 v6, v5
	v_fma_f32 v7, -v5, v6, 1.0
	v_fmac_f32_e32 v6, v7, v6
	v_div_scale_f32 v7, vcc_lo, 1.0, v3, 1.0
	v_mul_f32_e32 v8, v7, v6
	v_fma_f32 v9, -v5, v8, v7
	v_fmac_f32_e32 v8, v9, v6
	v_fma_f32 v5, -v5, v8, v7
	v_div_fmas_f32 v5, v5, v6, v8
	v_div_fixup_f32 v3, v5, v3, 1.0
	v_mul_f32_e32 v6, v2, v3
.LBB2_47:
	s_or_b32 exec_lo, exec_lo, s0
	v_cmp_gt_i32_e32 vcc_lo, s13, v0
	s_and_b32 exec_lo, exec_lo, vcc_lo
	s_cbranch_execnz .LBB2_42
	s_branch .LBB2_43
	.section	.rodata,"a",@progbits
	.p2align	6, 0x0
	.amdhsa_kernel _Z13topk_moe_cudaILi4ELb1EEvPKfPfPiS2_iiff15topk_moe_config
		.amdhsa_group_segment_fixed_size 0
		.amdhsa_private_segment_fixed_size 0
		.amdhsa_kernarg_size 312
		.amdhsa_user_sgpr_count 6
		.amdhsa_user_sgpr_private_segment_buffer 1
		.amdhsa_user_sgpr_dispatch_ptr 0
		.amdhsa_user_sgpr_queue_ptr 0
		.amdhsa_user_sgpr_kernarg_segment_ptr 1
		.amdhsa_user_sgpr_dispatch_id 0
		.amdhsa_user_sgpr_flat_scratch_init 0
		.amdhsa_user_sgpr_private_segment_size 0
		.amdhsa_wavefront_size32 1
		.amdhsa_uses_dynamic_stack 0
		.amdhsa_system_sgpr_private_segment_wavefront_offset 0
		.amdhsa_system_sgpr_workgroup_id_x 1
		.amdhsa_system_sgpr_workgroup_id_y 0
		.amdhsa_system_sgpr_workgroup_id_z 0
		.amdhsa_system_sgpr_workgroup_info 0
		.amdhsa_system_vgpr_workitem_id 1
		.amdhsa_next_free_vgpr 23
		.amdhsa_next_free_sgpr 16
		.amdhsa_reserve_vcc 1
		.amdhsa_reserve_flat_scratch 0
		.amdhsa_float_round_mode_32 0
		.amdhsa_float_round_mode_16_64 0
		.amdhsa_float_denorm_mode_32 3
		.amdhsa_float_denorm_mode_16_64 3
		.amdhsa_dx10_clamp 1
		.amdhsa_ieee_mode 1
		.amdhsa_fp16_overflow 0
		.amdhsa_workgroup_processor_mode 1
		.amdhsa_memory_ordered 1
		.amdhsa_forward_progress 1
		.amdhsa_shared_vgpr_count 0
		.amdhsa_exception_fp_ieee_invalid_op 0
		.amdhsa_exception_fp_denorm_src 0
		.amdhsa_exception_fp_ieee_div_zero 0
		.amdhsa_exception_fp_ieee_overflow 0
		.amdhsa_exception_fp_ieee_underflow 0
		.amdhsa_exception_fp_ieee_inexact 0
		.amdhsa_exception_int_div_zero 0
	.end_amdhsa_kernel
	.section	.text._Z13topk_moe_cudaILi4ELb1EEvPKfPfPiS2_iiff15topk_moe_config,"axG",@progbits,_Z13topk_moe_cudaILi4ELb1EEvPKfPfPiS2_iiff15topk_moe_config,comdat
.Lfunc_end2:
	.size	_Z13topk_moe_cudaILi4ELb1EEvPKfPfPiS2_iiff15topk_moe_config, .Lfunc_end2-_Z13topk_moe_cudaILi4ELb1EEvPKfPfPiS2_iiff15topk_moe_config
                                        ; -- End function
	.set _Z13topk_moe_cudaILi4ELb1EEvPKfPfPiS2_iiff15topk_moe_config.num_vgpr, 23
	.set _Z13topk_moe_cudaILi4ELb1EEvPKfPfPiS2_iiff15topk_moe_config.num_agpr, 0
	.set _Z13topk_moe_cudaILi4ELb1EEvPKfPfPiS2_iiff15topk_moe_config.numbered_sgpr, 16
	.set _Z13topk_moe_cudaILi4ELb1EEvPKfPfPiS2_iiff15topk_moe_config.num_named_barrier, 0
	.set _Z13topk_moe_cudaILi4ELb1EEvPKfPfPiS2_iiff15topk_moe_config.private_seg_size, 0
	.set _Z13topk_moe_cudaILi4ELb1EEvPKfPfPiS2_iiff15topk_moe_config.uses_vcc, 1
	.set _Z13topk_moe_cudaILi4ELb1EEvPKfPfPiS2_iiff15topk_moe_config.uses_flat_scratch, 0
	.set _Z13topk_moe_cudaILi4ELb1EEvPKfPfPiS2_iiff15topk_moe_config.has_dyn_sized_stack, 0
	.set _Z13topk_moe_cudaILi4ELb1EEvPKfPfPiS2_iiff15topk_moe_config.has_recursion, 0
	.set _Z13topk_moe_cudaILi4ELb1EEvPKfPfPiS2_iiff15topk_moe_config.has_indirect_call, 0
	.section	.AMDGPU.csdata,"",@progbits
; Kernel info:
; codeLenInByte = 2688
; TotalNumSgprs: 18
; NumVgprs: 23
; ScratchSize: 0
; MemoryBound: 0
; FloatMode: 240
; IeeeMode: 1
; LDSByteSize: 0 bytes/workgroup (compile time only)
; SGPRBlocks: 0
; VGPRBlocks: 2
; NumSGPRsForWavesPerEU: 18
; NumVGPRsForWavesPerEU: 23
; Occupancy: 16
; WaveLimiterHint : 0
; COMPUTE_PGM_RSRC2:SCRATCH_EN: 0
; COMPUTE_PGM_RSRC2:USER_SGPR: 6
; COMPUTE_PGM_RSRC2:TRAP_HANDLER: 0
; COMPUTE_PGM_RSRC2:TGID_X_EN: 1
; COMPUTE_PGM_RSRC2:TGID_Y_EN: 0
; COMPUTE_PGM_RSRC2:TGID_Z_EN: 0
; COMPUTE_PGM_RSRC2:TIDIG_COMP_CNT: 1
	.section	.text._Z13topk_moe_cudaILi8ELb1EEvPKfPfPiS2_iiff15topk_moe_config,"axG",@progbits,_Z13topk_moe_cudaILi8ELb1EEvPKfPfPiS2_iiff15topk_moe_config,comdat
	.protected	_Z13topk_moe_cudaILi8ELb1EEvPKfPfPiS2_iiff15topk_moe_config ; -- Begin function _Z13topk_moe_cudaILi8ELb1EEvPKfPfPiS2_iiff15topk_moe_config
	.globl	_Z13topk_moe_cudaILi8ELb1EEvPKfPfPiS2_iiff15topk_moe_config
	.p2align	8
	.type	_Z13topk_moe_cudaILi8ELb1EEvPKfPfPiS2_iiff15topk_moe_config,@function
_Z13topk_moe_cudaILi8ELb1EEvPKfPfPiS2_iiff15topk_moe_config: ; @_Z13topk_moe_cudaILi8ELb1EEvPKfPfPiS2_iiff15topk_moe_config
; %bb.0:
	s_clause 0x1
	s_load_dword s0, s[4:5], 0x44
	s_load_dwordx4 s[12:15], s[4:5], 0x20
	s_waitcnt lgkmcnt(0)
	s_lshr_b32 s0, s0, 16
	v_mad_u64_u32 v[1:2], null, s6, s0, v[1:2]
	s_mov_b32 s0, exec_lo
	v_cmpx_gt_i32_e64 s12, v1
	s_cbranch_execz .LBB3_43
; %bb.1:
	v_mov_b32_e32 v2, 0
	v_cmp_gt_u32_e64 s1, 8, v0
	v_mov_b32_e32 v5, 0xff800000
	v_lshlrev_b32_e32 v4, 2, v0
	s_clause 0x1
	global_load_ushort v6, v2, s[4:5] offset:48
	global_load_sbyte v7, v2, s[4:5] offset:50
	s_load_dwordx8 s[4:11], s[4:5], 0x0
	v_lshlrev_b32_e32 v2, 3, v1
	v_ashrrev_i32_e32 v3, 31, v2
	v_lshlrev_b64 v[2:3], 2, v[2:3]
	s_waitcnt vmcnt(1)
	v_readfirstlane_b32 s2, v6
	s_and_saveexec_b32 s0, s1
	s_cbranch_execz .LBB3_3
; %bb.2:
	s_waitcnt lgkmcnt(0)
	v_add_co_u32 v5, vcc_lo, s4, v2
	v_add_co_ci_u32_e64 v9, null, s5, v3, vcc_lo
	v_add_co_u32 v8, vcc_lo, v5, v4
	v_add_co_ci_u32_e64 v9, null, 0, v9, vcc_lo
	global_load_dword v5, v[8:9], off
.LBB3_3:
	s_or_b32 exec_lo, exec_lo, s0
	s_waitcnt vmcnt(0)
	v_and_b32_e32 v7, 1, v7
	v_cmp_eq_u32_e64 s0, 1, v7
	s_and_b32 vcc_lo, exec_lo, s0
	s_cbranch_vccnz .LBB3_9
; %bb.4:
	v_and_b32_e32 v6, 1, v6
	s_mov_b32 s3, 0
	v_cmp_eq_u32_e32 vcc_lo, 0, v6
	s_cbranch_vccz .LBB3_6
; %bb.5:
	v_mbcnt_lo_u32_b32 v6, -1, 0
	v_max_f32_e32 v8, v5, v5
	v_xor_b32_e32 v7, 16, v6
	v_max_f32_e32 v8, 0xff800000, v8
	v_xor_b32_e32 v10, 8, v6
	v_xor_b32_e32 v11, 4, v6
	;; [unrolled: 1-line block ×3, first 2 shown]
	v_cmp_gt_i32_e32 vcc_lo, 32, v7
	v_xor_b32_e32 v13, 1, v6
	v_cndmask_b32_e32 v7, v6, v7, vcc_lo
	v_cmp_gt_i32_e32 vcc_lo, 32, v10
	v_lshlrev_b32_e32 v7, 2, v7
	v_cndmask_b32_e32 v10, v6, v10, vcc_lo
	v_cmp_gt_i32_e32 vcc_lo, 32, v11
	ds_bpermute_b32 v9, v7, v8
	v_lshlrev_b32_e32 v10, 2, v10
	v_cndmask_b32_e32 v11, v6, v11, vcc_lo
	v_cmp_gt_i32_e32 vcc_lo, 32, v12
	v_lshlrev_b32_e32 v11, 2, v11
	v_cndmask_b32_e32 v12, v6, v12, vcc_lo
	v_cmp_gt_i32_e32 vcc_lo, 32, v13
	v_lshlrev_b32_e32 v12, 2, v12
	v_cndmask_b32_e32 v6, v6, v13, vcc_lo
	v_lshlrev_b32_e32 v6, 2, v6
	s_waitcnt lgkmcnt(0)
	v_max_f32_e32 v9, v9, v9
	v_max_f32_e32 v8, v8, v9
	ds_bpermute_b32 v9, v10, v8
	s_waitcnt lgkmcnt(0)
	v_max_f32_e32 v9, v9, v9
	v_max_f32_e32 v8, v8, v9
	ds_bpermute_b32 v9, v11, v8
	;; [unrolled: 4-line block ×4, first 2 shown]
	s_waitcnt lgkmcnt(0)
	v_max_f32_e32 v9, v9, v9
	v_max_f32_e32 v8, v8, v9
	v_sub_f32_e32 v8, v5, v8
	v_mul_f32_e32 v9, 0x3fb8aa3b, v8
	v_cmp_ngt_f32_e32 vcc_lo, 0xc2ce8ed0, v8
	v_fma_f32 v13, 0x3fb8aa3b, v8, -v9
	v_rndne_f32_e32 v14, v9
	v_fmamk_f32 v13, v8, 0x32a5705f, v13
	v_sub_f32_e32 v9, v9, v14
	v_add_f32_e32 v9, v9, v13
	v_cvt_i32_f32_e32 v13, v14
	v_exp_f32_e32 v9, v9
	v_ldexp_f32 v9, v9, v13
	v_cndmask_b32_e32 v9, 0, v9, vcc_lo
	v_cmp_nlt_f32_e32 vcc_lo, 0x42b17218, v8
	v_cndmask_b32_e32 v8, 0x7f800000, v9, vcc_lo
	ds_bpermute_b32 v7, v7, v8
	s_waitcnt lgkmcnt(0)
	v_add_f32_e32 v7, v8, v7
	ds_bpermute_b32 v9, v10, v7
	s_waitcnt lgkmcnt(0)
	v_add_f32_e32 v7, v7, v9
	;; [unrolled: 3-line block ×5, first 2 shown]
	v_div_scale_f32 v7, null, v6, v6, 1.0
	v_rcp_f32_e32 v9, v7
	v_fma_f32 v10, -v7, v9, 1.0
	v_fmac_f32_e32 v9, v10, v9
	v_div_scale_f32 v10, vcc_lo, 1.0, v6, 1.0
	v_mul_f32_e32 v11, v10, v9
	v_fma_f32 v12, -v7, v11, v10
	v_fmac_f32_e32 v11, v12, v9
	v_fma_f32 v7, -v7, v11, v10
	v_div_fmas_f32 v7, v7, v9, v11
	v_div_fixup_f32 v6, v7, v6, 1.0
	v_mul_f32_e32 v6, v8, v6
	s_andn2_b32 vcc_lo, exec_lo, s3
	s_cbranch_vccz .LBB3_7
	s_branch .LBB3_8
.LBB3_6:
                                        ; implicit-def: $vgpr6
.LBB3_7:
	v_mul_f32_e32 v6, 0xbfb8aa3b, v5
	v_cmp_nlt_f32_e32 vcc_lo, 0x42ce8ed0, v5
	v_rndne_f32_e32 v7, v6
	v_fma_f32 v8, 0xbfb8aa3b, v5, -v6
	v_sub_f32_e32 v6, v6, v7
	v_fmamk_f32 v8, v5, 0xb2a5705f, v8
	v_cvt_i32_f32_e32 v7, v7
	v_add_f32_e32 v6, v6, v8
	v_exp_f32_e32 v6, v6
	v_ldexp_f32 v6, v6, v7
	v_cndmask_b32_e32 v6, 0, v6, vcc_lo
	v_cmp_ngt_f32_e32 vcc_lo, 0xc2b17218, v5
	v_cndmask_b32_e32 v5, 0x7f800000, v6, vcc_lo
	v_add_f32_e32 v5, 1.0, v5
	v_div_scale_f32 v6, null, v5, v5, 1.0
	v_rcp_f32_e32 v7, v6
	v_fma_f32 v8, -v6, v7, 1.0
	v_fmac_f32_e32 v7, v8, v7
	v_div_scale_f32 v8, vcc_lo, 1.0, v5, 1.0
	v_mul_f32_e32 v9, v8, v7
	v_fma_f32 v10, -v6, v9, v8
	v_fmac_f32_e32 v9, v10, v7
	v_fma_f32 v6, -v6, v9, v8
	v_div_fmas_f32 v6, v6, v7, v9
	v_div_fixup_f32 v6, v6, v5, 1.0
.LBB3_8:
	v_mov_b32_e32 v5, v6
.LBB3_9:
	v_cmp_o_f32_e32 vcc_lo, v5, v5
	v_mov_b32_e32 v8, 0xff800000
	v_cndmask_b32_e32 v7, 0xff7fffff, v5, vcc_lo
	s_and_saveexec_b32 s3, s1
	s_cbranch_execz .LBB3_11
; %bb.10:
	s_waitcnt lgkmcnt(0)
	global_load_dword v5, v4, s[10:11]
	s_waitcnt vmcnt(0)
	v_add_f32_e32 v8, v7, v5
.LBB3_11:
	s_or_b32 exec_lo, exec_lo, s3
	s_lshr_b32 s1, s2, 8
	s_cmp_gt_i32 s13, 0
	s_mov_b32 s3, 0
	s_cbranch_scc1 .LBB3_13
; %bb.12:
	s_bitcmp1_b32 s1, 0
	s_cselect_b32 s2, -1, 0
	s_branch .LBB3_14
.LBB3_13:
	s_mov_b32 s3, -1
                                        ; implicit-def: $sgpr2
.LBB3_14:
	v_mov_b32_e32 v9, 0
	v_mbcnt_lo_u32_b32 v5, -1, 0
	v_mov_b32_e32 v6, 0
	s_andn2_b32 vcc_lo, exec_lo, s3
	s_cbranch_vccnz .LBB3_39
; %bb.15:
	v_xor_b32_e32 v6, 16, v5
	s_waitcnt lgkmcnt(0)
	v_add_co_u32 v2, vcc_lo, s8, v2
	v_add_co_ci_u32_e64 v3, null, s9, v3, vcc_lo
	v_xor_b32_e32 v9, 8, v5
	v_cmp_gt_i32_e32 vcc_lo, 32, v6
	v_xor_b32_e32 v10, 4, v5
	v_xor_b32_e32 v11, 2, v5
	;; [unrolled: 1-line block ×3, first 2 shown]
	s_bitcmp1_b32 s1, 0
	v_cndmask_b32_e32 v6, v5, v6, vcc_lo
	v_cmp_gt_i32_e32 vcc_lo, 32, v9
	s_mov_b32 s3, 0
	s_cselect_b32 s2, -1, 0
	v_cndmask_b32_e32 v9, v5, v9, vcc_lo
	v_cmp_gt_i32_e32 vcc_lo, 32, v10
	v_cndmask_b32_e32 v13, v5, v10, vcc_lo
	v_cmp_gt_i32_e32 vcc_lo, 32, v11
	v_lshlrev_b32_e32 v10, 2, v6
	v_mov_b32_e32 v6, 0
	v_cndmask_b32_e32 v14, v5, v11, vcc_lo
	v_cmp_gt_i32_e32 vcc_lo, 32, v12
	v_lshlrev_b32_e32 v11, 2, v9
	v_mov_b32_e32 v9, 0
	v_cndmask_b32_e32 v15, v5, v12, vcc_lo
	v_lshlrev_b32_e32 v12, 2, v13
	v_lshlrev_b32_e32 v13, 2, v14
	;; [unrolled: 1-line block ×3, first 2 shown]
	s_branch .LBB3_17
.LBB3_16:                               ;   in Loop: Header=BB3_17 Depth=1
	s_or_b32 exec_lo, exec_lo, s1
	s_and_b32 s1, s3, 31
	v_cndmask_b32_e64 v8, v8, 0xff800000, vcc_lo
	v_cmp_eq_u32_e32 vcc_lo, s1, v0
	s_add_i32 s3, s3, 1
	s_cmp_eq_u32 s13, s3
	v_cndmask_b32_e32 v6, v6, v15, vcc_lo
	v_add_co_u32 v2, vcc_lo, v2, 4
	v_add_co_ci_u32_e64 v3, null, 0, v3, vcc_lo
	s_cbranch_scc1 .LBB3_39
.LBB3_17:                               ; =>This Inner Loop Header: Depth=1
	ds_bpermute_b32 v20, v10, v8
	ds_bpermute_b32 v22, v10, v7
	;; [unrolled: 1-line block ×3, first 2 shown]
	s_mov_b32 s5, exec_lo
	s_waitcnt lgkmcnt(2)
	v_cmp_lt_f32_e64 s4, v8, v20
	v_cmpx_nlt_f32_e32 v8, v20
	s_cbranch_execz .LBB3_19
; %bb.18:                               ;   in Loop: Header=BB3_17 Depth=1
	v_cmp_eq_f32_e32 vcc_lo, v8, v20
	s_waitcnt lgkmcnt(0)
	v_cmp_lt_i32_e64 s1, v21, v0
	s_andn2_b32 s4, s4, exec_lo
	s_and_b32 s1, vcc_lo, s1
	s_and_b32 s1, s1, exec_lo
	s_or_b32 s4, s4, s1
.LBB3_19:                               ;   in Loop: Header=BB3_17 Depth=1
	s_or_b32 exec_lo, exec_lo, s5
	v_mov_b32_e32 v17, v8
	v_mov_b32_e32 v18, v7
	;; [unrolled: 1-line block ×5, first 2 shown]
	s_and_saveexec_b32 s1, s4
	s_cbranch_execz .LBB3_21
; %bb.20:                               ;   in Loop: Header=BB3_17 Depth=1
	v_mov_b32_e32 v17, v20
	s_waitcnt lgkmcnt(1)
	v_mov_b32_e32 v18, v22
	v_mov_b32_e32 v15, v22
	s_waitcnt lgkmcnt(0)
	v_mov_b32_e32 v16, v21
	v_mov_b32_e32 v19, v20
.LBB3_21:                               ;   in Loop: Header=BB3_17 Depth=1
	s_or_b32 exec_lo, exec_lo, s1
	ds_bpermute_b32 v20, v11, v17
	s_waitcnt lgkmcnt(2)
	ds_bpermute_b32 v22, v11, v18
	s_waitcnt lgkmcnt(2)
	ds_bpermute_b32 v21, v11, v16
	s_mov_b32 s5, exec_lo
	s_waitcnt lgkmcnt(2)
	v_cmp_lt_f32_e64 s4, v19, v20
	v_cmpx_nlt_f32_e32 v19, v20
	s_cbranch_execz .LBB3_23
; %bb.22:                               ;   in Loop: Header=BB3_17 Depth=1
	v_cmp_eq_f32_e32 vcc_lo, v19, v20
	s_waitcnt lgkmcnt(0)
	v_cmp_lt_i32_e64 s1, v21, v16
	s_andn2_b32 s4, s4, exec_lo
	s_and_b32 s1, vcc_lo, s1
	s_and_b32 s1, s1, exec_lo
	s_or_b32 s4, s4, s1
.LBB3_23:                               ;   in Loop: Header=BB3_17 Depth=1
	s_or_b32 exec_lo, exec_lo, s5
	s_and_saveexec_b32 s1, s4
	s_cbranch_execz .LBB3_25
; %bb.24:                               ;   in Loop: Header=BB3_17 Depth=1
	v_mov_b32_e32 v17, v20
	s_waitcnt lgkmcnt(1)
	v_mov_b32_e32 v18, v22
	v_mov_b32_e32 v15, v22
	s_waitcnt lgkmcnt(0)
	v_mov_b32_e32 v16, v21
	v_mov_b32_e32 v19, v20
.LBB3_25:                               ;   in Loop: Header=BB3_17 Depth=1
	s_or_b32 exec_lo, exec_lo, s1
	ds_bpermute_b32 v20, v12, v17
	s_waitcnt lgkmcnt(2)
	ds_bpermute_b32 v22, v12, v18
	s_waitcnt lgkmcnt(2)
	ds_bpermute_b32 v21, v12, v16
	s_mov_b32 s5, exec_lo
	s_waitcnt lgkmcnt(2)
	v_cmp_lt_f32_e64 s4, v19, v20
	v_cmpx_nlt_f32_e32 v19, v20
	s_cbranch_execz .LBB3_27
; %bb.26:                               ;   in Loop: Header=BB3_17 Depth=1
	v_cmp_eq_f32_e32 vcc_lo, v19, v20
	s_waitcnt lgkmcnt(0)
	v_cmp_lt_i32_e64 s1, v21, v16
	s_andn2_b32 s4, s4, exec_lo
	s_and_b32 s1, vcc_lo, s1
	s_and_b32 s1, s1, exec_lo
	s_or_b32 s4, s4, s1
.LBB3_27:                               ;   in Loop: Header=BB3_17 Depth=1
	s_or_b32 exec_lo, exec_lo, s5
	;; [unrolled: 32-line block ×3, first 2 shown]
	s_and_saveexec_b32 s1, s4
	s_cbranch_execz .LBB3_33
; %bb.32:                               ;   in Loop: Header=BB3_17 Depth=1
	v_mov_b32_e32 v17, v20
	s_waitcnt lgkmcnt(1)
	v_mov_b32_e32 v18, v22
	v_mov_b32_e32 v15, v22
	s_waitcnt lgkmcnt(0)
	v_mov_b32_e32 v16, v21
	v_mov_b32_e32 v19, v20
.LBB3_33:                               ;   in Loop: Header=BB3_17 Depth=1
	s_or_b32 exec_lo, exec_lo, s1
	ds_bpermute_b32 v20, v14, v17
	ds_bpermute_b32 v18, v14, v18
	ds_bpermute_b32 v17, v14, v16
	s_mov_b32 s5, exec_lo
	s_waitcnt lgkmcnt(2)
	v_cmp_lt_f32_e64 s4, v19, v20
	v_cmpx_nlt_f32_e32 v19, v20
	s_cbranch_execz .LBB3_35
; %bb.34:                               ;   in Loop: Header=BB3_17 Depth=1
	v_cmp_eq_f32_e32 vcc_lo, v19, v20
	s_waitcnt lgkmcnt(0)
	v_cmp_lt_i32_e64 s1, v17, v16
	s_andn2_b32 s4, s4, exec_lo
	s_and_b32 s1, vcc_lo, s1
	s_and_b32 s1, s1, exec_lo
	s_or_b32 s4, s4, s1
.LBB3_35:                               ;   in Loop: Header=BB3_17 Depth=1
	s_or_b32 exec_lo, exec_lo, s5
	s_and_saveexec_b32 s1, s4
	s_cbranch_execz .LBB3_37
; %bb.36:                               ;   in Loop: Header=BB3_17 Depth=1
	s_waitcnt lgkmcnt(1)
	v_mov_b32_e32 v15, v18
	s_waitcnt lgkmcnt(0)
	v_mov_b32_e32 v16, v17
.LBB3_37:                               ;   in Loop: Header=BB3_17 Depth=1
	s_or_b32 exec_lo, exec_lo, s1
	s_waitcnt lgkmcnt(0)
	v_and_b32_e32 v17, 31, v16
	v_cmp_eq_u32_e32 vcc_lo, v17, v0
	s_and_saveexec_b32 s1, vcc_lo
	s_cbranch_execz .LBB3_16
; %bb.38:                               ;   in Loop: Header=BB3_17 Depth=1
	v_add_f32_e32 v17, v9, v15
	global_store_dword v[2:3], v16, off
	v_cndmask_b32_e64 v9, v9, v17, s2
	s_branch .LBB3_16
.LBB3_39:
	s_and_b32 vcc_lo, exec_lo, s2
	s_cbranch_vccnz .LBB3_44
; %bb.40:
	v_cmp_gt_i32_e64 s1, s13, v0
	s_andn2_b32 vcc_lo, exec_lo, s0
	s_cbranch_vccz .LBB3_45
.LBB3_41:
	v_cmp_gt_i32_e32 vcc_lo, s13, v0
	s_and_b32 exec_lo, exec_lo, vcc_lo
	s_cbranch_execz .LBB3_43
.LBB3_42:
	v_mul_lo_u32 v0, v1, s13
	v_mul_f32_e32 v2, s15, v6
	v_ashrrev_i32_e32 v1, 31, v0
	v_lshlrev_b64 v[0:1], 2, v[0:1]
	s_waitcnt lgkmcnt(0)
	v_add_co_u32 v0, vcc_lo, s6, v0
	v_add_co_ci_u32_e64 v1, null, s7, v1, vcc_lo
	v_add_co_u32 v0, vcc_lo, v0, v4
	v_add_co_ci_u32_e64 v1, null, 0, v1, vcc_lo
	global_store_dword v[0:1], v2, off
.LBB3_43:
	s_endpgm
.LBB3_44:
	v_xor_b32_e32 v2, 16, v5
	v_xor_b32_e32 v3, 8, v5
	v_xor_b32_e32 v7, 4, v5
	v_cmp_gt_i32_e32 vcc_lo, 32, v2
	v_cndmask_b32_e32 v2, v5, v2, vcc_lo
	v_cmp_gt_i32_e32 vcc_lo, 32, v3
	v_lshlrev_b32_e32 v2, 2, v2
	v_cndmask_b32_e32 v3, v5, v3, vcc_lo
	v_cmp_gt_i32_e32 vcc_lo, 32, v7
	ds_bpermute_b32 v2, v2, v9
	v_lshlrev_b32_e32 v3, 2, v3
	v_cndmask_b32_e32 v7, v5, v7, vcc_lo
	v_lshlrev_b32_e32 v7, 2, v7
	s_waitcnt lgkmcnt(0)
	v_add_f32_e32 v2, v9, v2
	ds_bpermute_b32 v3, v3, v2
	s_waitcnt lgkmcnt(0)
	v_add_f32_e32 v2, v2, v3
	ds_bpermute_b32 v3, v7, v2
	v_xor_b32_e32 v7, 2, v5
	v_cmp_gt_i32_e32 vcc_lo, 32, v7
	v_cndmask_b32_e32 v7, v5, v7, vcc_lo
	v_lshlrev_b32_e32 v7, 2, v7
	s_waitcnt lgkmcnt(0)
	v_add_f32_e32 v2, v2, v3
	ds_bpermute_b32 v3, v7, v2
	v_xor_b32_e32 v7, 1, v5
	v_cmp_gt_i32_e32 vcc_lo, 32, v7
	v_cndmask_b32_e32 v7, v5, v7, vcc_lo
	v_lshlrev_b32_e32 v7, 2, v7
	s_waitcnt lgkmcnt(0)
	v_add_f32_e32 v2, v2, v3
	ds_bpermute_b32 v3, v7, v2
	v_max_f32_e64 v7, s14, s14
	s_waitcnt lgkmcnt(0)
	v_add_f32_e32 v2, v2, v3
	v_max_f32_e32 v2, v2, v7
	v_div_scale_f32 v3, null, v2, v2, 1.0
	v_rcp_f32_e32 v7, v3
	v_fma_f32 v8, -v3, v7, 1.0
	v_fmac_f32_e32 v7, v8, v7
	v_div_scale_f32 v8, vcc_lo, 1.0, v2, 1.0
	v_mul_f32_e32 v9, v8, v7
	v_fma_f32 v10, -v3, v9, v8
	v_fmac_f32_e32 v9, v10, v7
	v_fma_f32 v3, -v3, v9, v8
	v_div_fmas_f32 v3, v3, v7, v9
	v_div_fixup_f32 v2, v3, v2, 1.0
	v_mul_f32_e32 v6, v2, v6
	v_cmp_gt_i32_e64 s1, s13, v0
	s_andn2_b32 vcc_lo, exec_lo, s0
	s_cbranch_vccnz .LBB3_41
.LBB3_45:
	v_xor_b32_e32 v3, 16, v5
	v_max_f32_e32 v2, v6, v6
	v_xor_b32_e32 v8, 8, v5
	v_xor_b32_e32 v9, 4, v5
	;; [unrolled: 1-line block ×3, first 2 shown]
	v_cmp_gt_i32_e32 vcc_lo, 32, v3
	v_max_f32_e32 v2, 0xff800000, v2
	v_xor_b32_e32 v11, 1, v5
	v_cndmask_b32_e32 v3, v5, v3, vcc_lo
	v_cndmask_b32_e64 v2, 0xff800000, v2, s1
	v_cmp_gt_i32_e32 vcc_lo, 32, v8
	v_lshlrev_b32_e32 v3, 2, v3
	v_cndmask_b32_e32 v8, v5, v8, vcc_lo
	v_cmp_gt_i32_e32 vcc_lo, 32, v9
	ds_bpermute_b32 v7, v3, v2
	v_lshlrev_b32_e32 v8, 2, v8
	v_cndmask_b32_e32 v9, v5, v9, vcc_lo
	v_cmp_gt_i32_e32 vcc_lo, 32, v10
	v_lshlrev_b32_e32 v9, 2, v9
	v_cndmask_b32_e32 v10, v5, v10, vcc_lo
	v_cmp_gt_i32_e32 vcc_lo, 32, v11
	v_lshlrev_b32_e32 v10, 2, v10
	v_cndmask_b32_e32 v5, v5, v11, vcc_lo
	v_lshlrev_b32_e32 v5, 2, v5
	s_waitcnt lgkmcnt(0)
	v_max_f32_e32 v7, v7, v7
	v_max_f32_e32 v2, v2, v7
	ds_bpermute_b32 v7, v8, v2
	s_waitcnt lgkmcnt(0)
	v_max_f32_e32 v7, v7, v7
	v_max_f32_e32 v2, v2, v7
	ds_bpermute_b32 v7, v9, v2
	;; [unrolled: 4-line block ×4, first 2 shown]
	s_waitcnt lgkmcnt(0)
	v_max_f32_e32 v7, v7, v7
	v_max_f32_e32 v2, v2, v7
	v_sub_f32_e32 v2, v6, v2
	v_mul_f32_e32 v6, 0x3fb8aa3b, v2
	v_cmp_ngt_f32_e32 vcc_lo, 0xc2ce8ed0, v2
	v_fma_f32 v7, 0x3fb8aa3b, v2, -v6
	v_rndne_f32_e32 v11, v6
	v_fmamk_f32 v7, v2, 0x32a5705f, v7
	v_sub_f32_e32 v6, v6, v11
	v_add_f32_e32 v6, v6, v7
	v_cvt_i32_f32_e32 v7, v11
	v_exp_f32_e32 v6, v6
	v_ldexp_f32 v6, v6, v7
	v_cndmask_b32_e32 v6, 0, v6, vcc_lo
	v_cmp_nlt_f32_e32 vcc_lo, 0x42b17218, v2
	v_cndmask_b32_e32 v2, 0x7f800000, v6, vcc_lo
	v_cndmask_b32_e64 v6, 0, v2, s1
	ds_bpermute_b32 v3, v3, v6
	s_waitcnt lgkmcnt(0)
	v_add_f32_e32 v3, v6, v3
	ds_bpermute_b32 v6, v8, v3
	s_waitcnt lgkmcnt(0)
	v_add_f32_e32 v3, v3, v6
	;; [unrolled: 3-line block ×4, first 2 shown]
	v_mov_b32_e32 v6, 0
	ds_bpermute_b32 v5, v5, v3
	s_and_saveexec_b32 s0, s1
	s_cbranch_execz .LBB3_47
; %bb.46:
	s_waitcnt lgkmcnt(0)
	v_add_f32_e32 v3, v3, v5
	v_div_scale_f32 v5, null, v3, v3, 1.0
	v_rcp_f32_e32 v6, v5
	v_fma_f32 v7, -v5, v6, 1.0
	v_fmac_f32_e32 v6, v7, v6
	v_div_scale_f32 v7, vcc_lo, 1.0, v3, 1.0
	v_mul_f32_e32 v8, v7, v6
	v_fma_f32 v9, -v5, v8, v7
	v_fmac_f32_e32 v8, v9, v6
	v_fma_f32 v5, -v5, v8, v7
	v_div_fmas_f32 v5, v5, v6, v8
	v_div_fixup_f32 v3, v5, v3, 1.0
	v_mul_f32_e32 v6, v2, v3
.LBB3_47:
	s_or_b32 exec_lo, exec_lo, s0
	v_cmp_gt_i32_e32 vcc_lo, s13, v0
	s_and_b32 exec_lo, exec_lo, vcc_lo
	s_cbranch_execnz .LBB3_42
	s_branch .LBB3_43
	.section	.rodata,"a",@progbits
	.p2align	6, 0x0
	.amdhsa_kernel _Z13topk_moe_cudaILi8ELb1EEvPKfPfPiS2_iiff15topk_moe_config
		.amdhsa_group_segment_fixed_size 0
		.amdhsa_private_segment_fixed_size 0
		.amdhsa_kernarg_size 312
		.amdhsa_user_sgpr_count 6
		.amdhsa_user_sgpr_private_segment_buffer 1
		.amdhsa_user_sgpr_dispatch_ptr 0
		.amdhsa_user_sgpr_queue_ptr 0
		.amdhsa_user_sgpr_kernarg_segment_ptr 1
		.amdhsa_user_sgpr_dispatch_id 0
		.amdhsa_user_sgpr_flat_scratch_init 0
		.amdhsa_user_sgpr_private_segment_size 0
		.amdhsa_wavefront_size32 1
		.amdhsa_uses_dynamic_stack 0
		.amdhsa_system_sgpr_private_segment_wavefront_offset 0
		.amdhsa_system_sgpr_workgroup_id_x 1
		.amdhsa_system_sgpr_workgroup_id_y 0
		.amdhsa_system_sgpr_workgroup_id_z 0
		.amdhsa_system_sgpr_workgroup_info 0
		.amdhsa_system_vgpr_workitem_id 1
		.amdhsa_next_free_vgpr 23
		.amdhsa_next_free_sgpr 16
		.amdhsa_reserve_vcc 1
		.amdhsa_reserve_flat_scratch 0
		.amdhsa_float_round_mode_32 0
		.amdhsa_float_round_mode_16_64 0
		.amdhsa_float_denorm_mode_32 3
		.amdhsa_float_denorm_mode_16_64 3
		.amdhsa_dx10_clamp 1
		.amdhsa_ieee_mode 1
		.amdhsa_fp16_overflow 0
		.amdhsa_workgroup_processor_mode 1
		.amdhsa_memory_ordered 1
		.amdhsa_forward_progress 1
		.amdhsa_shared_vgpr_count 0
		.amdhsa_exception_fp_ieee_invalid_op 0
		.amdhsa_exception_fp_denorm_src 0
		.amdhsa_exception_fp_ieee_div_zero 0
		.amdhsa_exception_fp_ieee_overflow 0
		.amdhsa_exception_fp_ieee_underflow 0
		.amdhsa_exception_fp_ieee_inexact 0
		.amdhsa_exception_int_div_zero 0
	.end_amdhsa_kernel
	.section	.text._Z13topk_moe_cudaILi8ELb1EEvPKfPfPiS2_iiff15topk_moe_config,"axG",@progbits,_Z13topk_moe_cudaILi8ELb1EEvPKfPfPiS2_iiff15topk_moe_config,comdat
.Lfunc_end3:
	.size	_Z13topk_moe_cudaILi8ELb1EEvPKfPfPiS2_iiff15topk_moe_config, .Lfunc_end3-_Z13topk_moe_cudaILi8ELb1EEvPKfPfPiS2_iiff15topk_moe_config
                                        ; -- End function
	.set _Z13topk_moe_cudaILi8ELb1EEvPKfPfPiS2_iiff15topk_moe_config.num_vgpr, 23
	.set _Z13topk_moe_cudaILi8ELb1EEvPKfPfPiS2_iiff15topk_moe_config.num_agpr, 0
	.set _Z13topk_moe_cudaILi8ELb1EEvPKfPfPiS2_iiff15topk_moe_config.numbered_sgpr, 16
	.set _Z13topk_moe_cudaILi8ELb1EEvPKfPfPiS2_iiff15topk_moe_config.num_named_barrier, 0
	.set _Z13topk_moe_cudaILi8ELb1EEvPKfPfPiS2_iiff15topk_moe_config.private_seg_size, 0
	.set _Z13topk_moe_cudaILi8ELb1EEvPKfPfPiS2_iiff15topk_moe_config.uses_vcc, 1
	.set _Z13topk_moe_cudaILi8ELb1EEvPKfPfPiS2_iiff15topk_moe_config.uses_flat_scratch, 0
	.set _Z13topk_moe_cudaILi8ELb1EEvPKfPfPiS2_iiff15topk_moe_config.has_dyn_sized_stack, 0
	.set _Z13topk_moe_cudaILi8ELb1EEvPKfPfPiS2_iiff15topk_moe_config.has_recursion, 0
	.set _Z13topk_moe_cudaILi8ELb1EEvPKfPfPiS2_iiff15topk_moe_config.has_indirect_call, 0
	.section	.AMDGPU.csdata,"",@progbits
; Kernel info:
; codeLenInByte = 2688
; TotalNumSgprs: 18
; NumVgprs: 23
; ScratchSize: 0
; MemoryBound: 0
; FloatMode: 240
; IeeeMode: 1
; LDSByteSize: 0 bytes/workgroup (compile time only)
; SGPRBlocks: 0
; VGPRBlocks: 2
; NumSGPRsForWavesPerEU: 18
; NumVGPRsForWavesPerEU: 23
; Occupancy: 16
; WaveLimiterHint : 0
; COMPUTE_PGM_RSRC2:SCRATCH_EN: 0
; COMPUTE_PGM_RSRC2:USER_SGPR: 6
; COMPUTE_PGM_RSRC2:TRAP_HANDLER: 0
; COMPUTE_PGM_RSRC2:TGID_X_EN: 1
; COMPUTE_PGM_RSRC2:TGID_Y_EN: 0
; COMPUTE_PGM_RSRC2:TGID_Z_EN: 0
; COMPUTE_PGM_RSRC2:TIDIG_COMP_CNT: 1
	.section	.text._Z13topk_moe_cudaILi16ELb1EEvPKfPfPiS2_iiff15topk_moe_config,"axG",@progbits,_Z13topk_moe_cudaILi16ELb1EEvPKfPfPiS2_iiff15topk_moe_config,comdat
	.protected	_Z13topk_moe_cudaILi16ELb1EEvPKfPfPiS2_iiff15topk_moe_config ; -- Begin function _Z13topk_moe_cudaILi16ELb1EEvPKfPfPiS2_iiff15topk_moe_config
	.globl	_Z13topk_moe_cudaILi16ELb1EEvPKfPfPiS2_iiff15topk_moe_config
	.p2align	8
	.type	_Z13topk_moe_cudaILi16ELb1EEvPKfPfPiS2_iiff15topk_moe_config,@function
_Z13topk_moe_cudaILi16ELb1EEvPKfPfPiS2_iiff15topk_moe_config: ; @_Z13topk_moe_cudaILi16ELb1EEvPKfPfPiS2_iiff15topk_moe_config
; %bb.0:
	s_clause 0x1
	s_load_dword s0, s[4:5], 0x44
	s_load_dwordx4 s[12:15], s[4:5], 0x20
	s_waitcnt lgkmcnt(0)
	s_lshr_b32 s0, s0, 16
	v_mad_u64_u32 v[1:2], null, s6, s0, v[1:2]
	s_mov_b32 s0, exec_lo
	v_cmpx_gt_i32_e64 s12, v1
	s_cbranch_execz .LBB4_43
; %bb.1:
	v_mov_b32_e32 v2, 0
	v_cmp_gt_u32_e64 s1, 16, v0
	v_mov_b32_e32 v5, 0xff800000
	v_lshlrev_b32_e32 v4, 2, v0
	s_clause 0x1
	global_load_ushort v6, v2, s[4:5] offset:48
	global_load_sbyte v7, v2, s[4:5] offset:50
	s_load_dwordx8 s[4:11], s[4:5], 0x0
	v_lshlrev_b32_e32 v2, 4, v1
	v_ashrrev_i32_e32 v3, 31, v2
	v_lshlrev_b64 v[2:3], 2, v[2:3]
	s_waitcnt vmcnt(1)
	v_readfirstlane_b32 s2, v6
	s_and_saveexec_b32 s0, s1
	s_cbranch_execz .LBB4_3
; %bb.2:
	s_waitcnt lgkmcnt(0)
	v_add_co_u32 v5, vcc_lo, s4, v2
	v_add_co_ci_u32_e64 v9, null, s5, v3, vcc_lo
	v_add_co_u32 v8, vcc_lo, v5, v4
	v_add_co_ci_u32_e64 v9, null, 0, v9, vcc_lo
	global_load_dword v5, v[8:9], off
.LBB4_3:
	s_or_b32 exec_lo, exec_lo, s0
	s_waitcnt vmcnt(0)
	v_and_b32_e32 v7, 1, v7
	v_cmp_eq_u32_e64 s0, 1, v7
	s_and_b32 vcc_lo, exec_lo, s0
	s_cbranch_vccnz .LBB4_9
; %bb.4:
	v_and_b32_e32 v6, 1, v6
	s_mov_b32 s3, 0
	v_cmp_eq_u32_e32 vcc_lo, 0, v6
	s_cbranch_vccz .LBB4_6
; %bb.5:
	v_mbcnt_lo_u32_b32 v6, -1, 0
	v_max_f32_e32 v8, v5, v5
	v_xor_b32_e32 v7, 16, v6
	v_max_f32_e32 v8, 0xff800000, v8
	v_xor_b32_e32 v10, 8, v6
	v_xor_b32_e32 v11, 4, v6
	;; [unrolled: 1-line block ×3, first 2 shown]
	v_cmp_gt_i32_e32 vcc_lo, 32, v7
	v_xor_b32_e32 v13, 1, v6
	v_cndmask_b32_e32 v7, v6, v7, vcc_lo
	v_cmp_gt_i32_e32 vcc_lo, 32, v10
	v_lshlrev_b32_e32 v7, 2, v7
	v_cndmask_b32_e32 v10, v6, v10, vcc_lo
	v_cmp_gt_i32_e32 vcc_lo, 32, v11
	ds_bpermute_b32 v9, v7, v8
	v_lshlrev_b32_e32 v10, 2, v10
	v_cndmask_b32_e32 v11, v6, v11, vcc_lo
	v_cmp_gt_i32_e32 vcc_lo, 32, v12
	v_lshlrev_b32_e32 v11, 2, v11
	v_cndmask_b32_e32 v12, v6, v12, vcc_lo
	v_cmp_gt_i32_e32 vcc_lo, 32, v13
	v_lshlrev_b32_e32 v12, 2, v12
	v_cndmask_b32_e32 v6, v6, v13, vcc_lo
	v_lshlrev_b32_e32 v6, 2, v6
	s_waitcnt lgkmcnt(0)
	v_max_f32_e32 v9, v9, v9
	v_max_f32_e32 v8, v8, v9
	ds_bpermute_b32 v9, v10, v8
	s_waitcnt lgkmcnt(0)
	v_max_f32_e32 v9, v9, v9
	v_max_f32_e32 v8, v8, v9
	ds_bpermute_b32 v9, v11, v8
	;; [unrolled: 4-line block ×4, first 2 shown]
	s_waitcnt lgkmcnt(0)
	v_max_f32_e32 v9, v9, v9
	v_max_f32_e32 v8, v8, v9
	v_sub_f32_e32 v8, v5, v8
	v_mul_f32_e32 v9, 0x3fb8aa3b, v8
	v_cmp_ngt_f32_e32 vcc_lo, 0xc2ce8ed0, v8
	v_fma_f32 v13, 0x3fb8aa3b, v8, -v9
	v_rndne_f32_e32 v14, v9
	v_fmamk_f32 v13, v8, 0x32a5705f, v13
	v_sub_f32_e32 v9, v9, v14
	v_add_f32_e32 v9, v9, v13
	v_cvt_i32_f32_e32 v13, v14
	v_exp_f32_e32 v9, v9
	v_ldexp_f32 v9, v9, v13
	v_cndmask_b32_e32 v9, 0, v9, vcc_lo
	v_cmp_nlt_f32_e32 vcc_lo, 0x42b17218, v8
	v_cndmask_b32_e32 v8, 0x7f800000, v9, vcc_lo
	ds_bpermute_b32 v7, v7, v8
	s_waitcnt lgkmcnt(0)
	v_add_f32_e32 v7, v8, v7
	ds_bpermute_b32 v9, v10, v7
	s_waitcnt lgkmcnt(0)
	v_add_f32_e32 v7, v7, v9
	ds_bpermute_b32 v9, v11, v7
	s_waitcnt lgkmcnt(0)
	v_add_f32_e32 v7, v7, v9
	ds_bpermute_b32 v9, v12, v7
	s_waitcnt lgkmcnt(0)
	v_add_f32_e32 v7, v7, v9
	ds_bpermute_b32 v6, v6, v7
	s_waitcnt lgkmcnt(0)
	v_add_f32_e32 v6, v7, v6
	v_div_scale_f32 v7, null, v6, v6, 1.0
	v_rcp_f32_e32 v9, v7
	v_fma_f32 v10, -v7, v9, 1.0
	v_fmac_f32_e32 v9, v10, v9
	v_div_scale_f32 v10, vcc_lo, 1.0, v6, 1.0
	v_mul_f32_e32 v11, v10, v9
	v_fma_f32 v12, -v7, v11, v10
	v_fmac_f32_e32 v11, v12, v9
	v_fma_f32 v7, -v7, v11, v10
	v_div_fmas_f32 v7, v7, v9, v11
	v_div_fixup_f32 v6, v7, v6, 1.0
	v_mul_f32_e32 v6, v8, v6
	s_andn2_b32 vcc_lo, exec_lo, s3
	s_cbranch_vccz .LBB4_7
	s_branch .LBB4_8
.LBB4_6:
                                        ; implicit-def: $vgpr6
.LBB4_7:
	v_mul_f32_e32 v6, 0xbfb8aa3b, v5
	v_cmp_nlt_f32_e32 vcc_lo, 0x42ce8ed0, v5
	v_rndne_f32_e32 v7, v6
	v_fma_f32 v8, 0xbfb8aa3b, v5, -v6
	v_sub_f32_e32 v6, v6, v7
	v_fmamk_f32 v8, v5, 0xb2a5705f, v8
	v_cvt_i32_f32_e32 v7, v7
	v_add_f32_e32 v6, v6, v8
	v_exp_f32_e32 v6, v6
	v_ldexp_f32 v6, v6, v7
	v_cndmask_b32_e32 v6, 0, v6, vcc_lo
	v_cmp_ngt_f32_e32 vcc_lo, 0xc2b17218, v5
	v_cndmask_b32_e32 v5, 0x7f800000, v6, vcc_lo
	v_add_f32_e32 v5, 1.0, v5
	v_div_scale_f32 v6, null, v5, v5, 1.0
	v_rcp_f32_e32 v7, v6
	v_fma_f32 v8, -v6, v7, 1.0
	v_fmac_f32_e32 v7, v8, v7
	v_div_scale_f32 v8, vcc_lo, 1.0, v5, 1.0
	v_mul_f32_e32 v9, v8, v7
	v_fma_f32 v10, -v6, v9, v8
	v_fmac_f32_e32 v9, v10, v7
	v_fma_f32 v6, -v6, v9, v8
	v_div_fmas_f32 v6, v6, v7, v9
	v_div_fixup_f32 v6, v6, v5, 1.0
.LBB4_8:
	v_mov_b32_e32 v5, v6
.LBB4_9:
	v_cmp_o_f32_e32 vcc_lo, v5, v5
	v_mov_b32_e32 v8, 0xff800000
	v_cndmask_b32_e32 v7, 0xff7fffff, v5, vcc_lo
	s_and_saveexec_b32 s3, s1
	s_cbranch_execz .LBB4_11
; %bb.10:
	s_waitcnt lgkmcnt(0)
	global_load_dword v5, v4, s[10:11]
	s_waitcnt vmcnt(0)
	v_add_f32_e32 v8, v7, v5
.LBB4_11:
	s_or_b32 exec_lo, exec_lo, s3
	s_lshr_b32 s1, s2, 8
	s_cmp_gt_i32 s13, 0
	s_mov_b32 s3, 0
	s_cbranch_scc1 .LBB4_13
; %bb.12:
	s_bitcmp1_b32 s1, 0
	s_cselect_b32 s2, -1, 0
	s_branch .LBB4_14
.LBB4_13:
	s_mov_b32 s3, -1
                                        ; implicit-def: $sgpr2
.LBB4_14:
	v_mov_b32_e32 v9, 0
	v_mbcnt_lo_u32_b32 v5, -1, 0
	v_mov_b32_e32 v6, 0
	s_andn2_b32 vcc_lo, exec_lo, s3
	s_cbranch_vccnz .LBB4_39
; %bb.15:
	v_xor_b32_e32 v6, 16, v5
	s_waitcnt lgkmcnt(0)
	v_add_co_u32 v2, vcc_lo, s8, v2
	v_add_co_ci_u32_e64 v3, null, s9, v3, vcc_lo
	v_xor_b32_e32 v9, 8, v5
	v_cmp_gt_i32_e32 vcc_lo, 32, v6
	v_xor_b32_e32 v10, 4, v5
	v_xor_b32_e32 v11, 2, v5
	;; [unrolled: 1-line block ×3, first 2 shown]
	s_bitcmp1_b32 s1, 0
	v_cndmask_b32_e32 v6, v5, v6, vcc_lo
	v_cmp_gt_i32_e32 vcc_lo, 32, v9
	s_mov_b32 s3, 0
	s_cselect_b32 s2, -1, 0
	v_cndmask_b32_e32 v9, v5, v9, vcc_lo
	v_cmp_gt_i32_e32 vcc_lo, 32, v10
	v_cndmask_b32_e32 v13, v5, v10, vcc_lo
	v_cmp_gt_i32_e32 vcc_lo, 32, v11
	v_lshlrev_b32_e32 v10, 2, v6
	v_mov_b32_e32 v6, 0
	v_cndmask_b32_e32 v14, v5, v11, vcc_lo
	v_cmp_gt_i32_e32 vcc_lo, 32, v12
	v_lshlrev_b32_e32 v11, 2, v9
	v_mov_b32_e32 v9, 0
	v_cndmask_b32_e32 v15, v5, v12, vcc_lo
	v_lshlrev_b32_e32 v12, 2, v13
	v_lshlrev_b32_e32 v13, 2, v14
	;; [unrolled: 1-line block ×3, first 2 shown]
	s_branch .LBB4_17
.LBB4_16:                               ;   in Loop: Header=BB4_17 Depth=1
	s_or_b32 exec_lo, exec_lo, s1
	s_and_b32 s1, s3, 31
	v_cndmask_b32_e64 v8, v8, 0xff800000, vcc_lo
	v_cmp_eq_u32_e32 vcc_lo, s1, v0
	s_add_i32 s3, s3, 1
	s_cmp_eq_u32 s13, s3
	v_cndmask_b32_e32 v6, v6, v15, vcc_lo
	v_add_co_u32 v2, vcc_lo, v2, 4
	v_add_co_ci_u32_e64 v3, null, 0, v3, vcc_lo
	s_cbranch_scc1 .LBB4_39
.LBB4_17:                               ; =>This Inner Loop Header: Depth=1
	ds_bpermute_b32 v20, v10, v8
	ds_bpermute_b32 v22, v10, v7
	;; [unrolled: 1-line block ×3, first 2 shown]
	s_mov_b32 s5, exec_lo
	s_waitcnt lgkmcnt(2)
	v_cmp_lt_f32_e64 s4, v8, v20
	v_cmpx_nlt_f32_e32 v8, v20
	s_cbranch_execz .LBB4_19
; %bb.18:                               ;   in Loop: Header=BB4_17 Depth=1
	v_cmp_eq_f32_e32 vcc_lo, v8, v20
	s_waitcnt lgkmcnt(0)
	v_cmp_lt_i32_e64 s1, v21, v0
	s_andn2_b32 s4, s4, exec_lo
	s_and_b32 s1, vcc_lo, s1
	s_and_b32 s1, s1, exec_lo
	s_or_b32 s4, s4, s1
.LBB4_19:                               ;   in Loop: Header=BB4_17 Depth=1
	s_or_b32 exec_lo, exec_lo, s5
	v_mov_b32_e32 v17, v8
	v_mov_b32_e32 v18, v7
	v_mov_b32_e32 v15, v7
	v_mov_b32_e32 v16, v0
	v_mov_b32_e32 v19, v8
	s_and_saveexec_b32 s1, s4
	s_cbranch_execz .LBB4_21
; %bb.20:                               ;   in Loop: Header=BB4_17 Depth=1
	v_mov_b32_e32 v17, v20
	s_waitcnt lgkmcnt(1)
	v_mov_b32_e32 v18, v22
	v_mov_b32_e32 v15, v22
	s_waitcnt lgkmcnt(0)
	v_mov_b32_e32 v16, v21
	v_mov_b32_e32 v19, v20
.LBB4_21:                               ;   in Loop: Header=BB4_17 Depth=1
	s_or_b32 exec_lo, exec_lo, s1
	ds_bpermute_b32 v20, v11, v17
	s_waitcnt lgkmcnt(2)
	ds_bpermute_b32 v22, v11, v18
	s_waitcnt lgkmcnt(2)
	ds_bpermute_b32 v21, v11, v16
	s_mov_b32 s5, exec_lo
	s_waitcnt lgkmcnt(2)
	v_cmp_lt_f32_e64 s4, v19, v20
	v_cmpx_nlt_f32_e32 v19, v20
	s_cbranch_execz .LBB4_23
; %bb.22:                               ;   in Loop: Header=BB4_17 Depth=1
	v_cmp_eq_f32_e32 vcc_lo, v19, v20
	s_waitcnt lgkmcnt(0)
	v_cmp_lt_i32_e64 s1, v21, v16
	s_andn2_b32 s4, s4, exec_lo
	s_and_b32 s1, vcc_lo, s1
	s_and_b32 s1, s1, exec_lo
	s_or_b32 s4, s4, s1
.LBB4_23:                               ;   in Loop: Header=BB4_17 Depth=1
	s_or_b32 exec_lo, exec_lo, s5
	s_and_saveexec_b32 s1, s4
	s_cbranch_execz .LBB4_25
; %bb.24:                               ;   in Loop: Header=BB4_17 Depth=1
	v_mov_b32_e32 v17, v20
	s_waitcnt lgkmcnt(1)
	v_mov_b32_e32 v18, v22
	v_mov_b32_e32 v15, v22
	s_waitcnt lgkmcnt(0)
	v_mov_b32_e32 v16, v21
	v_mov_b32_e32 v19, v20
.LBB4_25:                               ;   in Loop: Header=BB4_17 Depth=1
	s_or_b32 exec_lo, exec_lo, s1
	ds_bpermute_b32 v20, v12, v17
	s_waitcnt lgkmcnt(2)
	ds_bpermute_b32 v22, v12, v18
	s_waitcnt lgkmcnt(2)
	ds_bpermute_b32 v21, v12, v16
	s_mov_b32 s5, exec_lo
	s_waitcnt lgkmcnt(2)
	v_cmp_lt_f32_e64 s4, v19, v20
	v_cmpx_nlt_f32_e32 v19, v20
	s_cbranch_execz .LBB4_27
; %bb.26:                               ;   in Loop: Header=BB4_17 Depth=1
	v_cmp_eq_f32_e32 vcc_lo, v19, v20
	s_waitcnt lgkmcnt(0)
	v_cmp_lt_i32_e64 s1, v21, v16
	s_andn2_b32 s4, s4, exec_lo
	s_and_b32 s1, vcc_lo, s1
	s_and_b32 s1, s1, exec_lo
	s_or_b32 s4, s4, s1
.LBB4_27:                               ;   in Loop: Header=BB4_17 Depth=1
	s_or_b32 exec_lo, exec_lo, s5
	;; [unrolled: 32-line block ×3, first 2 shown]
	s_and_saveexec_b32 s1, s4
	s_cbranch_execz .LBB4_33
; %bb.32:                               ;   in Loop: Header=BB4_17 Depth=1
	v_mov_b32_e32 v17, v20
	s_waitcnt lgkmcnt(1)
	v_mov_b32_e32 v18, v22
	v_mov_b32_e32 v15, v22
	s_waitcnt lgkmcnt(0)
	v_mov_b32_e32 v16, v21
	v_mov_b32_e32 v19, v20
.LBB4_33:                               ;   in Loop: Header=BB4_17 Depth=1
	s_or_b32 exec_lo, exec_lo, s1
	ds_bpermute_b32 v20, v14, v17
	ds_bpermute_b32 v18, v14, v18
	;; [unrolled: 1-line block ×3, first 2 shown]
	s_mov_b32 s5, exec_lo
	s_waitcnt lgkmcnt(2)
	v_cmp_lt_f32_e64 s4, v19, v20
	v_cmpx_nlt_f32_e32 v19, v20
	s_cbranch_execz .LBB4_35
; %bb.34:                               ;   in Loop: Header=BB4_17 Depth=1
	v_cmp_eq_f32_e32 vcc_lo, v19, v20
	s_waitcnt lgkmcnt(0)
	v_cmp_lt_i32_e64 s1, v17, v16
	s_andn2_b32 s4, s4, exec_lo
	s_and_b32 s1, vcc_lo, s1
	s_and_b32 s1, s1, exec_lo
	s_or_b32 s4, s4, s1
.LBB4_35:                               ;   in Loop: Header=BB4_17 Depth=1
	s_or_b32 exec_lo, exec_lo, s5
	s_and_saveexec_b32 s1, s4
	s_cbranch_execz .LBB4_37
; %bb.36:                               ;   in Loop: Header=BB4_17 Depth=1
	s_waitcnt lgkmcnt(1)
	v_mov_b32_e32 v15, v18
	s_waitcnt lgkmcnt(0)
	v_mov_b32_e32 v16, v17
.LBB4_37:                               ;   in Loop: Header=BB4_17 Depth=1
	s_or_b32 exec_lo, exec_lo, s1
	s_waitcnt lgkmcnt(0)
	v_and_b32_e32 v17, 31, v16
	v_cmp_eq_u32_e32 vcc_lo, v17, v0
	s_and_saveexec_b32 s1, vcc_lo
	s_cbranch_execz .LBB4_16
; %bb.38:                               ;   in Loop: Header=BB4_17 Depth=1
	v_add_f32_e32 v17, v9, v15
	global_store_dword v[2:3], v16, off
	v_cndmask_b32_e64 v9, v9, v17, s2
	s_branch .LBB4_16
.LBB4_39:
	s_and_b32 vcc_lo, exec_lo, s2
	s_cbranch_vccnz .LBB4_44
; %bb.40:
	v_cmp_gt_i32_e64 s1, s13, v0
	s_andn2_b32 vcc_lo, exec_lo, s0
	s_cbranch_vccz .LBB4_45
.LBB4_41:
	v_cmp_gt_i32_e32 vcc_lo, s13, v0
	s_and_b32 exec_lo, exec_lo, vcc_lo
	s_cbranch_execz .LBB4_43
.LBB4_42:
	v_mul_lo_u32 v0, v1, s13
	v_mul_f32_e32 v2, s15, v6
	v_ashrrev_i32_e32 v1, 31, v0
	v_lshlrev_b64 v[0:1], 2, v[0:1]
	s_waitcnt lgkmcnt(0)
	v_add_co_u32 v0, vcc_lo, s6, v0
	v_add_co_ci_u32_e64 v1, null, s7, v1, vcc_lo
	v_add_co_u32 v0, vcc_lo, v0, v4
	v_add_co_ci_u32_e64 v1, null, 0, v1, vcc_lo
	global_store_dword v[0:1], v2, off
.LBB4_43:
	s_endpgm
.LBB4_44:
	v_xor_b32_e32 v2, 16, v5
	v_xor_b32_e32 v3, 8, v5
	;; [unrolled: 1-line block ×3, first 2 shown]
	v_cmp_gt_i32_e32 vcc_lo, 32, v2
	v_cndmask_b32_e32 v2, v5, v2, vcc_lo
	v_cmp_gt_i32_e32 vcc_lo, 32, v3
	v_lshlrev_b32_e32 v2, 2, v2
	v_cndmask_b32_e32 v3, v5, v3, vcc_lo
	v_cmp_gt_i32_e32 vcc_lo, 32, v7
	ds_bpermute_b32 v2, v2, v9
	v_lshlrev_b32_e32 v3, 2, v3
	v_cndmask_b32_e32 v7, v5, v7, vcc_lo
	v_lshlrev_b32_e32 v7, 2, v7
	s_waitcnt lgkmcnt(0)
	v_add_f32_e32 v2, v9, v2
	ds_bpermute_b32 v3, v3, v2
	s_waitcnt lgkmcnt(0)
	v_add_f32_e32 v2, v2, v3
	ds_bpermute_b32 v3, v7, v2
	v_xor_b32_e32 v7, 2, v5
	v_cmp_gt_i32_e32 vcc_lo, 32, v7
	v_cndmask_b32_e32 v7, v5, v7, vcc_lo
	v_lshlrev_b32_e32 v7, 2, v7
	s_waitcnt lgkmcnt(0)
	v_add_f32_e32 v2, v2, v3
	ds_bpermute_b32 v3, v7, v2
	v_xor_b32_e32 v7, 1, v5
	v_cmp_gt_i32_e32 vcc_lo, 32, v7
	v_cndmask_b32_e32 v7, v5, v7, vcc_lo
	v_lshlrev_b32_e32 v7, 2, v7
	s_waitcnt lgkmcnt(0)
	v_add_f32_e32 v2, v2, v3
	ds_bpermute_b32 v3, v7, v2
	v_max_f32_e64 v7, s14, s14
	s_waitcnt lgkmcnt(0)
	v_add_f32_e32 v2, v2, v3
	v_max_f32_e32 v2, v2, v7
	v_div_scale_f32 v3, null, v2, v2, 1.0
	v_rcp_f32_e32 v7, v3
	v_fma_f32 v8, -v3, v7, 1.0
	v_fmac_f32_e32 v7, v8, v7
	v_div_scale_f32 v8, vcc_lo, 1.0, v2, 1.0
	v_mul_f32_e32 v9, v8, v7
	v_fma_f32 v10, -v3, v9, v8
	v_fmac_f32_e32 v9, v10, v7
	v_fma_f32 v3, -v3, v9, v8
	v_div_fmas_f32 v3, v3, v7, v9
	v_div_fixup_f32 v2, v3, v2, 1.0
	v_mul_f32_e32 v6, v2, v6
	v_cmp_gt_i32_e64 s1, s13, v0
	s_andn2_b32 vcc_lo, exec_lo, s0
	s_cbranch_vccnz .LBB4_41
.LBB4_45:
	v_xor_b32_e32 v3, 16, v5
	v_max_f32_e32 v2, v6, v6
	v_xor_b32_e32 v8, 8, v5
	v_xor_b32_e32 v9, 4, v5
	;; [unrolled: 1-line block ×3, first 2 shown]
	v_cmp_gt_i32_e32 vcc_lo, 32, v3
	v_max_f32_e32 v2, 0xff800000, v2
	v_xor_b32_e32 v11, 1, v5
	v_cndmask_b32_e32 v3, v5, v3, vcc_lo
	v_cndmask_b32_e64 v2, 0xff800000, v2, s1
	v_cmp_gt_i32_e32 vcc_lo, 32, v8
	v_lshlrev_b32_e32 v3, 2, v3
	v_cndmask_b32_e32 v8, v5, v8, vcc_lo
	v_cmp_gt_i32_e32 vcc_lo, 32, v9
	ds_bpermute_b32 v7, v3, v2
	v_lshlrev_b32_e32 v8, 2, v8
	v_cndmask_b32_e32 v9, v5, v9, vcc_lo
	v_cmp_gt_i32_e32 vcc_lo, 32, v10
	v_lshlrev_b32_e32 v9, 2, v9
	v_cndmask_b32_e32 v10, v5, v10, vcc_lo
	v_cmp_gt_i32_e32 vcc_lo, 32, v11
	v_lshlrev_b32_e32 v10, 2, v10
	v_cndmask_b32_e32 v5, v5, v11, vcc_lo
	v_lshlrev_b32_e32 v5, 2, v5
	s_waitcnt lgkmcnt(0)
	v_max_f32_e32 v7, v7, v7
	v_max_f32_e32 v2, v2, v7
	ds_bpermute_b32 v7, v8, v2
	s_waitcnt lgkmcnt(0)
	v_max_f32_e32 v7, v7, v7
	v_max_f32_e32 v2, v2, v7
	ds_bpermute_b32 v7, v9, v2
	s_waitcnt lgkmcnt(0)
	v_max_f32_e32 v7, v7, v7
	v_max_f32_e32 v2, v2, v7
	ds_bpermute_b32 v7, v10, v2
	s_waitcnt lgkmcnt(0)
	v_max_f32_e32 v7, v7, v7
	v_max_f32_e32 v2, v2, v7
	ds_bpermute_b32 v7, v5, v2
	s_waitcnt lgkmcnt(0)
	v_max_f32_e32 v7, v7, v7
	v_max_f32_e32 v2, v2, v7
	v_sub_f32_e32 v2, v6, v2
	v_mul_f32_e32 v6, 0x3fb8aa3b, v2
	v_cmp_ngt_f32_e32 vcc_lo, 0xc2ce8ed0, v2
	v_fma_f32 v7, 0x3fb8aa3b, v2, -v6
	v_rndne_f32_e32 v11, v6
	v_fmamk_f32 v7, v2, 0x32a5705f, v7
	v_sub_f32_e32 v6, v6, v11
	v_add_f32_e32 v6, v6, v7
	v_cvt_i32_f32_e32 v7, v11
	v_exp_f32_e32 v6, v6
	v_ldexp_f32 v6, v6, v7
	v_cndmask_b32_e32 v6, 0, v6, vcc_lo
	v_cmp_nlt_f32_e32 vcc_lo, 0x42b17218, v2
	v_cndmask_b32_e32 v2, 0x7f800000, v6, vcc_lo
	v_cndmask_b32_e64 v6, 0, v2, s1
	ds_bpermute_b32 v3, v3, v6
	s_waitcnt lgkmcnt(0)
	v_add_f32_e32 v3, v6, v3
	ds_bpermute_b32 v6, v8, v3
	s_waitcnt lgkmcnt(0)
	v_add_f32_e32 v3, v3, v6
	;; [unrolled: 3-line block ×4, first 2 shown]
	v_mov_b32_e32 v6, 0
	ds_bpermute_b32 v5, v5, v3
	s_and_saveexec_b32 s0, s1
	s_cbranch_execz .LBB4_47
; %bb.46:
	s_waitcnt lgkmcnt(0)
	v_add_f32_e32 v3, v3, v5
	v_div_scale_f32 v5, null, v3, v3, 1.0
	v_rcp_f32_e32 v6, v5
	v_fma_f32 v7, -v5, v6, 1.0
	v_fmac_f32_e32 v6, v7, v6
	v_div_scale_f32 v7, vcc_lo, 1.0, v3, 1.0
	v_mul_f32_e32 v8, v7, v6
	v_fma_f32 v9, -v5, v8, v7
	v_fmac_f32_e32 v8, v9, v6
	v_fma_f32 v5, -v5, v8, v7
	v_div_fmas_f32 v5, v5, v6, v8
	v_div_fixup_f32 v3, v5, v3, 1.0
	v_mul_f32_e32 v6, v2, v3
.LBB4_47:
	s_or_b32 exec_lo, exec_lo, s0
	v_cmp_gt_i32_e32 vcc_lo, s13, v0
	s_and_b32 exec_lo, exec_lo, vcc_lo
	s_cbranch_execnz .LBB4_42
	s_branch .LBB4_43
	.section	.rodata,"a",@progbits
	.p2align	6, 0x0
	.amdhsa_kernel _Z13topk_moe_cudaILi16ELb1EEvPKfPfPiS2_iiff15topk_moe_config
		.amdhsa_group_segment_fixed_size 0
		.amdhsa_private_segment_fixed_size 0
		.amdhsa_kernarg_size 312
		.amdhsa_user_sgpr_count 6
		.amdhsa_user_sgpr_private_segment_buffer 1
		.amdhsa_user_sgpr_dispatch_ptr 0
		.amdhsa_user_sgpr_queue_ptr 0
		.amdhsa_user_sgpr_kernarg_segment_ptr 1
		.amdhsa_user_sgpr_dispatch_id 0
		.amdhsa_user_sgpr_flat_scratch_init 0
		.amdhsa_user_sgpr_private_segment_size 0
		.amdhsa_wavefront_size32 1
		.amdhsa_uses_dynamic_stack 0
		.amdhsa_system_sgpr_private_segment_wavefront_offset 0
		.amdhsa_system_sgpr_workgroup_id_x 1
		.amdhsa_system_sgpr_workgroup_id_y 0
		.amdhsa_system_sgpr_workgroup_id_z 0
		.amdhsa_system_sgpr_workgroup_info 0
		.amdhsa_system_vgpr_workitem_id 1
		.amdhsa_next_free_vgpr 23
		.amdhsa_next_free_sgpr 16
		.amdhsa_reserve_vcc 1
		.amdhsa_reserve_flat_scratch 0
		.amdhsa_float_round_mode_32 0
		.amdhsa_float_round_mode_16_64 0
		.amdhsa_float_denorm_mode_32 3
		.amdhsa_float_denorm_mode_16_64 3
		.amdhsa_dx10_clamp 1
		.amdhsa_ieee_mode 1
		.amdhsa_fp16_overflow 0
		.amdhsa_workgroup_processor_mode 1
		.amdhsa_memory_ordered 1
		.amdhsa_forward_progress 1
		.amdhsa_shared_vgpr_count 0
		.amdhsa_exception_fp_ieee_invalid_op 0
		.amdhsa_exception_fp_denorm_src 0
		.amdhsa_exception_fp_ieee_div_zero 0
		.amdhsa_exception_fp_ieee_overflow 0
		.amdhsa_exception_fp_ieee_underflow 0
		.amdhsa_exception_fp_ieee_inexact 0
		.amdhsa_exception_int_div_zero 0
	.end_amdhsa_kernel
	.section	.text._Z13topk_moe_cudaILi16ELb1EEvPKfPfPiS2_iiff15topk_moe_config,"axG",@progbits,_Z13topk_moe_cudaILi16ELb1EEvPKfPfPiS2_iiff15topk_moe_config,comdat
.Lfunc_end4:
	.size	_Z13topk_moe_cudaILi16ELb1EEvPKfPfPiS2_iiff15topk_moe_config, .Lfunc_end4-_Z13topk_moe_cudaILi16ELb1EEvPKfPfPiS2_iiff15topk_moe_config
                                        ; -- End function
	.set _Z13topk_moe_cudaILi16ELb1EEvPKfPfPiS2_iiff15topk_moe_config.num_vgpr, 23
	.set _Z13topk_moe_cudaILi16ELb1EEvPKfPfPiS2_iiff15topk_moe_config.num_agpr, 0
	.set _Z13topk_moe_cudaILi16ELb1EEvPKfPfPiS2_iiff15topk_moe_config.numbered_sgpr, 16
	.set _Z13topk_moe_cudaILi16ELb1EEvPKfPfPiS2_iiff15topk_moe_config.num_named_barrier, 0
	.set _Z13topk_moe_cudaILi16ELb1EEvPKfPfPiS2_iiff15topk_moe_config.private_seg_size, 0
	.set _Z13topk_moe_cudaILi16ELb1EEvPKfPfPiS2_iiff15topk_moe_config.uses_vcc, 1
	.set _Z13topk_moe_cudaILi16ELb1EEvPKfPfPiS2_iiff15topk_moe_config.uses_flat_scratch, 0
	.set _Z13topk_moe_cudaILi16ELb1EEvPKfPfPiS2_iiff15topk_moe_config.has_dyn_sized_stack, 0
	.set _Z13topk_moe_cudaILi16ELb1EEvPKfPfPiS2_iiff15topk_moe_config.has_recursion, 0
	.set _Z13topk_moe_cudaILi16ELb1EEvPKfPfPiS2_iiff15topk_moe_config.has_indirect_call, 0
	.section	.AMDGPU.csdata,"",@progbits
; Kernel info:
; codeLenInByte = 2688
; TotalNumSgprs: 18
; NumVgprs: 23
; ScratchSize: 0
; MemoryBound: 0
; FloatMode: 240
; IeeeMode: 1
; LDSByteSize: 0 bytes/workgroup (compile time only)
; SGPRBlocks: 0
; VGPRBlocks: 2
; NumSGPRsForWavesPerEU: 18
; NumVGPRsForWavesPerEU: 23
; Occupancy: 16
; WaveLimiterHint : 0
; COMPUTE_PGM_RSRC2:SCRATCH_EN: 0
; COMPUTE_PGM_RSRC2:USER_SGPR: 6
; COMPUTE_PGM_RSRC2:TRAP_HANDLER: 0
; COMPUTE_PGM_RSRC2:TGID_X_EN: 1
; COMPUTE_PGM_RSRC2:TGID_Y_EN: 0
; COMPUTE_PGM_RSRC2:TGID_Z_EN: 0
; COMPUTE_PGM_RSRC2:TIDIG_COMP_CNT: 1
	.section	.text._Z13topk_moe_cudaILi32ELb1EEvPKfPfPiS2_iiff15topk_moe_config,"axG",@progbits,_Z13topk_moe_cudaILi32ELb1EEvPKfPfPiS2_iiff15topk_moe_config,comdat
	.protected	_Z13topk_moe_cudaILi32ELb1EEvPKfPfPiS2_iiff15topk_moe_config ; -- Begin function _Z13topk_moe_cudaILi32ELb1EEvPKfPfPiS2_iiff15topk_moe_config
	.globl	_Z13topk_moe_cudaILi32ELb1EEvPKfPfPiS2_iiff15topk_moe_config
	.p2align	8
	.type	_Z13topk_moe_cudaILi32ELb1EEvPKfPfPiS2_iiff15topk_moe_config,@function
_Z13topk_moe_cudaILi32ELb1EEvPKfPfPiS2_iiff15topk_moe_config: ; @_Z13topk_moe_cudaILi32ELb1EEvPKfPfPiS2_iiff15topk_moe_config
; %bb.0:
	s_clause 0x1
	s_load_dword s7, s[4:5], 0x44
	s_load_dwordx4 s[0:3], s[4:5], 0x20
	s_waitcnt lgkmcnt(0)
	s_lshr_b32 s7, s7, 16
	v_mad_u64_u32 v[1:2], null, s6, s7, v[1:2]
	v_cmp_gt_i32_e32 vcc_lo, s0, v1
	s_and_saveexec_b32 s0, vcc_lo
	s_cbranch_execz .LBB5_39
; %bb.1:
	s_load_dwordx8 s[8:15], s[4:5], 0x0
	v_lshlrev_b32_e32 v2, 5, v1
	v_mov_b32_e32 v4, 0
	v_ashrrev_i32_e32 v3, 31, v2
	global_load_ushort v5, v4, s[4:5] offset:48
	v_lshlrev_b32_e32 v4, 2, v0
	s_load_dword s4, s[4:5], 0x30
	v_lshlrev_b64 v[2:3], 2, v[2:3]
	s_waitcnt lgkmcnt(0)
	v_add_co_u32 v6, vcc_lo, s8, v2
	v_add_co_ci_u32_e64 v7, null, s9, v3, vcc_lo
	v_add_co_u32 v6, vcc_lo, v6, v4
	v_add_co_ci_u32_e64 v7, null, 0, v7, vcc_lo
	global_load_dword v8, v[6:7], off
	s_waitcnt vmcnt(1)
	v_readfirstlane_b32 s0, v5
	s_and_b32 s0, 0xffff, s0
	s_bitcmp1_b32 s4, 16
	s_cselect_b32 s4, -1, 0
	s_and_b32 vcc_lo, exec_lo, s4
	s_cbranch_vccnz .LBB5_7
; %bb.2:
	v_and_b32_e32 v5, 1, v5
	s_mov_b32 s5, 0
	v_cmp_eq_u32_e32 vcc_lo, 0, v5
	s_cbranch_vccz .LBB5_4
; %bb.3:
	v_mbcnt_lo_u32_b32 v5, -1, 0
	s_waitcnt vmcnt(0)
	v_max_f32_e32 v7, v8, v8
	v_xor_b32_e32 v6, 16, v5
	v_max_f32_e32 v7, 0xff800000, v7
	v_xor_b32_e32 v10, 8, v5
	v_xor_b32_e32 v11, 4, v5
	;; [unrolled: 1-line block ×3, first 2 shown]
	v_cmp_gt_i32_e32 vcc_lo, 32, v6
	v_xor_b32_e32 v13, 1, v5
	v_cndmask_b32_e32 v6, v5, v6, vcc_lo
	v_cmp_gt_i32_e32 vcc_lo, 32, v10
	v_lshlrev_b32_e32 v6, 2, v6
	v_cndmask_b32_e32 v10, v5, v10, vcc_lo
	v_cmp_gt_i32_e32 vcc_lo, 32, v11
	ds_bpermute_b32 v9, v6, v7
	v_lshlrev_b32_e32 v10, 2, v10
	v_cndmask_b32_e32 v11, v5, v11, vcc_lo
	v_cmp_gt_i32_e32 vcc_lo, 32, v12
	v_lshlrev_b32_e32 v11, 2, v11
	v_cndmask_b32_e32 v12, v5, v12, vcc_lo
	v_cmp_gt_i32_e32 vcc_lo, 32, v13
	v_lshlrev_b32_e32 v12, 2, v12
	v_cndmask_b32_e32 v5, v5, v13, vcc_lo
	v_lshlrev_b32_e32 v5, 2, v5
	s_waitcnt lgkmcnt(0)
	v_max_f32_e32 v9, v9, v9
	v_max_f32_e32 v7, v7, v9
	ds_bpermute_b32 v9, v10, v7
	s_waitcnt lgkmcnt(0)
	v_max_f32_e32 v9, v9, v9
	v_max_f32_e32 v7, v7, v9
	ds_bpermute_b32 v9, v11, v7
	;; [unrolled: 4-line block ×4, first 2 shown]
	s_waitcnt lgkmcnt(0)
	v_max_f32_e32 v9, v9, v9
	v_max_f32_e32 v7, v7, v9
	v_sub_f32_e32 v7, v8, v7
	v_mul_f32_e32 v9, 0x3fb8aa3b, v7
	v_cmp_ngt_f32_e32 vcc_lo, 0xc2ce8ed0, v7
	v_fma_f32 v13, 0x3fb8aa3b, v7, -v9
	v_rndne_f32_e32 v14, v9
	v_fmamk_f32 v13, v7, 0x32a5705f, v13
	v_sub_f32_e32 v9, v9, v14
	v_add_f32_e32 v9, v9, v13
	v_cvt_i32_f32_e32 v13, v14
	v_exp_f32_e32 v9, v9
	v_ldexp_f32 v9, v9, v13
	v_cndmask_b32_e32 v9, 0, v9, vcc_lo
	v_cmp_nlt_f32_e32 vcc_lo, 0x42b17218, v7
	v_cndmask_b32_e32 v7, 0x7f800000, v9, vcc_lo
	ds_bpermute_b32 v6, v6, v7
	s_waitcnt lgkmcnt(0)
	v_add_f32_e32 v6, v7, v6
	ds_bpermute_b32 v9, v10, v6
	s_waitcnt lgkmcnt(0)
	v_add_f32_e32 v6, v6, v9
	;; [unrolled: 3-line block ×5, first 2 shown]
	v_div_scale_f32 v6, null, v5, v5, 1.0
	v_rcp_f32_e32 v9, v6
	v_fma_f32 v10, -v6, v9, 1.0
	v_fmac_f32_e32 v9, v10, v9
	v_div_scale_f32 v10, vcc_lo, 1.0, v5, 1.0
	v_mul_f32_e32 v11, v10, v9
	v_fma_f32 v12, -v6, v11, v10
	v_fmac_f32_e32 v11, v12, v9
	v_fma_f32 v6, -v6, v11, v10
	v_div_fmas_f32 v6, v6, v9, v11
	v_div_fixup_f32 v5, v6, v5, 1.0
	v_mul_f32_e32 v5, v7, v5
	s_andn2_b32 vcc_lo, exec_lo, s5
	s_cbranch_vccz .LBB5_5
	s_branch .LBB5_6
.LBB5_4:
                                        ; implicit-def: $vgpr5
.LBB5_5:
	s_waitcnt vmcnt(0)
	v_mul_f32_e32 v5, 0xbfb8aa3b, v8
	v_cmp_nlt_f32_e32 vcc_lo, 0x42ce8ed0, v8
	v_rndne_f32_e32 v6, v5
	v_fma_f32 v7, 0xbfb8aa3b, v8, -v5
	v_sub_f32_e32 v5, v5, v6
	v_fmamk_f32 v7, v8, 0xb2a5705f, v7
	v_cvt_i32_f32_e32 v6, v6
	v_add_f32_e32 v5, v5, v7
	v_exp_f32_e32 v5, v5
	v_ldexp_f32 v5, v5, v6
	v_cndmask_b32_e32 v5, 0, v5, vcc_lo
	v_cmp_ngt_f32_e32 vcc_lo, 0xc2b17218, v8
	v_cndmask_b32_e32 v5, 0x7f800000, v5, vcc_lo
	v_add_f32_e32 v5, 1.0, v5
	v_div_scale_f32 v6, null, v5, v5, 1.0
	v_rcp_f32_e32 v7, v6
	v_fma_f32 v8, -v6, v7, 1.0
	v_fmac_f32_e32 v7, v8, v7
	v_div_scale_f32 v8, vcc_lo, 1.0, v5, 1.0
	v_mul_f32_e32 v9, v8, v7
	v_fma_f32 v10, -v6, v9, v8
	v_fmac_f32_e32 v9, v10, v7
	v_fma_f32 v6, -v6, v9, v8
	v_div_fmas_f32 v6, v6, v7, v9
	v_div_fixup_f32 v5, v6, v5, 1.0
.LBB5_6:
	s_waitcnt vmcnt(0)
	v_mov_b32_e32 v8, v5
.LBB5_7:
	s_lshr_b32 s0, s0, 8
	s_cmp_gt_i32 s1, 0
	s_mov_b32 s6, 0
	s_cbranch_scc1 .LBB5_9
; %bb.8:
	s_bitcmp1_b32 s0, 0
	s_cselect_b32 s5, -1, 0
	s_branch .LBB5_10
.LBB5_9:
	s_mov_b32 s6, -1
                                        ; implicit-def: $sgpr5
.LBB5_10:
	v_mov_b32_e32 v7, 0
	v_mbcnt_lo_u32_b32 v5, -1, 0
	v_mov_b32_e32 v6, 0
	s_andn2_b32 vcc_lo, exec_lo, s6
	s_cbranch_vccnz .LBB5_35
; %bb.11:
	global_load_dword v6, v4, s[14:15]
	s_waitcnt vmcnt(1)
	v_cmp_o_f32_e32 vcc_lo, v8, v8
	v_xor_b32_e32 v9, 16, v5
	v_xor_b32_e32 v10, 8, v5
	;; [unrolled: 1-line block ×4, first 2 shown]
	v_cndmask_b32_e32 v8, 0xff7fffff, v8, vcc_lo
	v_add_co_u32 v2, vcc_lo, s12, v2
	v_add_co_ci_u32_e64 v3, null, s13, v3, vcc_lo
	v_cmp_gt_i32_e32 vcc_lo, 32, v9
	v_xor_b32_e32 v13, 1, v5
	v_mov_b32_e32 v7, 0
	s_bitcmp1_b32 s0, 0
	s_mov_b32 s6, 0
	v_cndmask_b32_e32 v9, v5, v9, vcc_lo
	v_cmp_gt_i32_e32 vcc_lo, 32, v10
	s_cselect_b32 s5, -1, 0
	v_lshlrev_b32_e32 v9, 2, v9
	v_cndmask_b32_e32 v10, v5, v10, vcc_lo
	v_cmp_gt_i32_e32 vcc_lo, 32, v11
	v_lshlrev_b32_e32 v10, 2, v10
	v_cndmask_b32_e32 v11, v5, v11, vcc_lo
	v_cmp_gt_i32_e32 vcc_lo, 32, v12
	;; [unrolled: 3-line block ×3, first 2 shown]
	v_lshlrev_b32_e32 v12, 2, v12
	v_cndmask_b32_e32 v13, v5, v13, vcc_lo
	v_lshlrev_b32_e32 v13, 2, v13
	s_waitcnt vmcnt(0)
	v_add_f32_e32 v14, v8, v6
	v_mov_b32_e32 v6, 0
	s_branch .LBB5_13
.LBB5_12:                               ;   in Loop: Header=BB5_13 Depth=1
	s_or_b32 exec_lo, exec_lo, s0
	s_and_b32 s0, s6, 31
	v_cndmask_b32_e64 v14, v14, 0xff800000, vcc_lo
	v_cmp_eq_u32_e32 vcc_lo, s0, v0
	s_add_i32 s6, s6, 1
	s_cmp_eq_u32 s1, s6
	v_cndmask_b32_e32 v6, v6, v15, vcc_lo
	v_add_co_u32 v2, vcc_lo, v2, 4
	v_add_co_ci_u32_e64 v3, null, 0, v3, vcc_lo
	s_cbranch_scc1 .LBB5_35
.LBB5_13:                               ; =>This Inner Loop Header: Depth=1
	ds_bpermute_b32 v20, v9, v14
	ds_bpermute_b32 v22, v9, v8
	;; [unrolled: 1-line block ×3, first 2 shown]
	s_mov_b32 s8, exec_lo
	s_waitcnt lgkmcnt(2)
	v_cmp_lt_f32_e64 s7, v14, v20
	v_cmpx_nlt_f32_e32 v14, v20
	s_cbranch_execz .LBB5_15
; %bb.14:                               ;   in Loop: Header=BB5_13 Depth=1
	v_cmp_eq_f32_e32 vcc_lo, v14, v20
	s_waitcnt lgkmcnt(0)
	v_cmp_lt_i32_e64 s0, v21, v0
	s_andn2_b32 s7, s7, exec_lo
	s_and_b32 s0, vcc_lo, s0
	s_and_b32 s0, s0, exec_lo
	s_or_b32 s7, s7, s0
.LBB5_15:                               ;   in Loop: Header=BB5_13 Depth=1
	s_or_b32 exec_lo, exec_lo, s8
	v_mov_b32_e32 v17, v14
	v_mov_b32_e32 v18, v8
	;; [unrolled: 1-line block ×5, first 2 shown]
	s_and_saveexec_b32 s0, s7
	s_cbranch_execz .LBB5_17
; %bb.16:                               ;   in Loop: Header=BB5_13 Depth=1
	v_mov_b32_e32 v17, v20
	s_waitcnt lgkmcnt(1)
	v_mov_b32_e32 v18, v22
	v_mov_b32_e32 v15, v22
	s_waitcnt lgkmcnt(0)
	v_mov_b32_e32 v16, v21
	v_mov_b32_e32 v19, v20
.LBB5_17:                               ;   in Loop: Header=BB5_13 Depth=1
	s_or_b32 exec_lo, exec_lo, s0
	ds_bpermute_b32 v20, v10, v17
	s_waitcnt lgkmcnt(2)
	ds_bpermute_b32 v22, v10, v18
	s_waitcnt lgkmcnt(2)
	ds_bpermute_b32 v21, v10, v16
	s_mov_b32 s8, exec_lo
	s_waitcnt lgkmcnt(2)
	v_cmp_lt_f32_e64 s7, v19, v20
	v_cmpx_nlt_f32_e32 v19, v20
	s_cbranch_execz .LBB5_19
; %bb.18:                               ;   in Loop: Header=BB5_13 Depth=1
	v_cmp_eq_f32_e32 vcc_lo, v19, v20
	s_waitcnt lgkmcnt(0)
	v_cmp_lt_i32_e64 s0, v21, v16
	s_andn2_b32 s7, s7, exec_lo
	s_and_b32 s0, vcc_lo, s0
	s_and_b32 s0, s0, exec_lo
	s_or_b32 s7, s7, s0
.LBB5_19:                               ;   in Loop: Header=BB5_13 Depth=1
	s_or_b32 exec_lo, exec_lo, s8
	s_and_saveexec_b32 s0, s7
	s_cbranch_execz .LBB5_21
; %bb.20:                               ;   in Loop: Header=BB5_13 Depth=1
	v_mov_b32_e32 v17, v20
	s_waitcnt lgkmcnt(1)
	v_mov_b32_e32 v18, v22
	v_mov_b32_e32 v15, v22
	s_waitcnt lgkmcnt(0)
	v_mov_b32_e32 v16, v21
	v_mov_b32_e32 v19, v20
.LBB5_21:                               ;   in Loop: Header=BB5_13 Depth=1
	s_or_b32 exec_lo, exec_lo, s0
	ds_bpermute_b32 v20, v11, v17
	s_waitcnt lgkmcnt(2)
	ds_bpermute_b32 v22, v11, v18
	s_waitcnt lgkmcnt(2)
	ds_bpermute_b32 v21, v11, v16
	s_mov_b32 s8, exec_lo
	s_waitcnt lgkmcnt(2)
	v_cmp_lt_f32_e64 s7, v19, v20
	v_cmpx_nlt_f32_e32 v19, v20
	s_cbranch_execz .LBB5_23
; %bb.22:                               ;   in Loop: Header=BB5_13 Depth=1
	v_cmp_eq_f32_e32 vcc_lo, v19, v20
	s_waitcnt lgkmcnt(0)
	v_cmp_lt_i32_e64 s0, v21, v16
	s_andn2_b32 s7, s7, exec_lo
	s_and_b32 s0, vcc_lo, s0
	s_and_b32 s0, s0, exec_lo
	s_or_b32 s7, s7, s0
.LBB5_23:                               ;   in Loop: Header=BB5_13 Depth=1
	s_or_b32 exec_lo, exec_lo, s8
	;; [unrolled: 32-line block ×3, first 2 shown]
	s_and_saveexec_b32 s0, s7
	s_cbranch_execz .LBB5_29
; %bb.28:                               ;   in Loop: Header=BB5_13 Depth=1
	v_mov_b32_e32 v17, v20
	s_waitcnt lgkmcnt(1)
	v_mov_b32_e32 v18, v22
	v_mov_b32_e32 v15, v22
	s_waitcnt lgkmcnt(0)
	v_mov_b32_e32 v16, v21
	v_mov_b32_e32 v19, v20
.LBB5_29:                               ;   in Loop: Header=BB5_13 Depth=1
	s_or_b32 exec_lo, exec_lo, s0
	ds_bpermute_b32 v20, v13, v17
	ds_bpermute_b32 v18, v13, v18
	;; [unrolled: 1-line block ×3, first 2 shown]
	s_mov_b32 s8, exec_lo
	s_waitcnt lgkmcnt(2)
	v_cmp_lt_f32_e64 s7, v19, v20
	v_cmpx_nlt_f32_e32 v19, v20
	s_cbranch_execz .LBB5_31
; %bb.30:                               ;   in Loop: Header=BB5_13 Depth=1
	v_cmp_eq_f32_e32 vcc_lo, v19, v20
	s_waitcnt lgkmcnt(0)
	v_cmp_lt_i32_e64 s0, v17, v16
	s_andn2_b32 s7, s7, exec_lo
	s_and_b32 s0, vcc_lo, s0
	s_and_b32 s0, s0, exec_lo
	s_or_b32 s7, s7, s0
.LBB5_31:                               ;   in Loop: Header=BB5_13 Depth=1
	s_or_b32 exec_lo, exec_lo, s8
	s_and_saveexec_b32 s0, s7
	s_cbranch_execz .LBB5_33
; %bb.32:                               ;   in Loop: Header=BB5_13 Depth=1
	s_waitcnt lgkmcnt(1)
	v_mov_b32_e32 v15, v18
	s_waitcnt lgkmcnt(0)
	v_mov_b32_e32 v16, v17
.LBB5_33:                               ;   in Loop: Header=BB5_13 Depth=1
	s_or_b32 exec_lo, exec_lo, s0
	s_waitcnt lgkmcnt(0)
	v_and_b32_e32 v17, 31, v16
	v_cmp_eq_u32_e32 vcc_lo, v17, v0
	s_and_saveexec_b32 s0, vcc_lo
	s_cbranch_execz .LBB5_12
; %bb.34:                               ;   in Loop: Header=BB5_13 Depth=1
	v_add_f32_e32 v17, v7, v15
	global_store_dword v[2:3], v16, off
	v_cndmask_b32_e64 v7, v7, v17, s5
	s_branch .LBB5_12
.LBB5_35:
	s_and_b32 vcc_lo, exec_lo, s5
	s_cbranch_vccnz .LBB5_40
; %bb.36:
	v_cmp_gt_i32_e64 s0, s1, v0
	s_andn2_b32 vcc_lo, exec_lo, s4
	s_cbranch_vccz .LBB5_41
.LBB5_37:
	v_cmp_gt_i32_e32 vcc_lo, s1, v0
	s_and_b32 exec_lo, exec_lo, vcc_lo
	s_cbranch_execz .LBB5_39
.LBB5_38:
	v_mul_lo_u32 v0, v1, s1
	v_mul_f32_e32 v2, s3, v6
	v_ashrrev_i32_e32 v1, 31, v0
	v_lshlrev_b64 v[0:1], 2, v[0:1]
	v_add_co_u32 v0, vcc_lo, s10, v0
	v_add_co_ci_u32_e64 v1, null, s11, v1, vcc_lo
	v_add_co_u32 v0, vcc_lo, v0, v4
	v_add_co_ci_u32_e64 v1, null, 0, v1, vcc_lo
	global_store_dword v[0:1], v2, off
.LBB5_39:
	s_endpgm
.LBB5_40:
	v_xor_b32_e32 v2, 16, v5
	v_xor_b32_e32 v3, 8, v5
	v_cmp_gt_i32_e32 vcc_lo, 32, v2
	v_cndmask_b32_e32 v2, v5, v2, vcc_lo
	v_cmp_gt_i32_e32 vcc_lo, 32, v3
	v_lshlrev_b32_e32 v2, 2, v2
	v_cndmask_b32_e32 v3, v5, v3, vcc_lo
	ds_bpermute_b32 v2, v2, v7
	v_lshlrev_b32_e32 v3, 2, v3
	s_waitcnt lgkmcnt(0)
	v_add_f32_e32 v2, v7, v2
	v_xor_b32_e32 v7, 4, v5
	ds_bpermute_b32 v3, v3, v2
	v_cmp_gt_i32_e32 vcc_lo, 32, v7
	v_cndmask_b32_e32 v7, v5, v7, vcc_lo
	v_lshlrev_b32_e32 v7, 2, v7
	s_waitcnt lgkmcnt(0)
	v_add_f32_e32 v2, v2, v3
	ds_bpermute_b32 v3, v7, v2
	v_xor_b32_e32 v7, 2, v5
	v_cmp_gt_i32_e32 vcc_lo, 32, v7
	v_cndmask_b32_e32 v7, v5, v7, vcc_lo
	v_lshlrev_b32_e32 v7, 2, v7
	s_waitcnt lgkmcnt(0)
	v_add_f32_e32 v2, v2, v3
	ds_bpermute_b32 v3, v7, v2
	v_xor_b32_e32 v7, 1, v5
	v_cmp_gt_i32_e32 vcc_lo, 32, v7
	v_cndmask_b32_e32 v7, v5, v7, vcc_lo
	v_lshlrev_b32_e32 v7, 2, v7
	s_waitcnt lgkmcnt(0)
	v_add_f32_e32 v2, v2, v3
	ds_bpermute_b32 v3, v7, v2
	v_max_f32_e64 v7, s2, s2
	s_waitcnt lgkmcnt(0)
	v_add_f32_e32 v2, v2, v3
	v_max_f32_e32 v2, v2, v7
	v_div_scale_f32 v3, null, v2, v2, 1.0
	v_rcp_f32_e32 v7, v3
	s_waitcnt vmcnt(0)
	v_fma_f32 v8, -v3, v7, 1.0
	v_fmac_f32_e32 v7, v8, v7
	v_div_scale_f32 v8, vcc_lo, 1.0, v2, 1.0
	v_mul_f32_e32 v9, v8, v7
	v_fma_f32 v10, -v3, v9, v8
	v_fmac_f32_e32 v9, v10, v7
	v_fma_f32 v3, -v3, v9, v8
	v_div_fmas_f32 v3, v3, v7, v9
	v_div_fixup_f32 v2, v3, v2, 1.0
	v_mul_f32_e32 v6, v2, v6
	v_cmp_gt_i32_e64 s0, s1, v0
	s_andn2_b32 vcc_lo, exec_lo, s4
	s_cbranch_vccnz .LBB5_37
.LBB5_41:
	v_xor_b32_e32 v3, 16, v5
	v_max_f32_e32 v2, v6, v6
	s_waitcnt vmcnt(0)
	v_xor_b32_e32 v8, 8, v5
	v_xor_b32_e32 v9, 4, v5
	;; [unrolled: 1-line block ×3, first 2 shown]
	v_cmp_gt_i32_e32 vcc_lo, 32, v3
	v_max_f32_e32 v2, 0xff800000, v2
	v_xor_b32_e32 v11, 1, v5
	v_cndmask_b32_e32 v3, v5, v3, vcc_lo
	v_cndmask_b32_e64 v2, 0xff800000, v2, s0
	v_cmp_gt_i32_e32 vcc_lo, 32, v8
	v_lshlrev_b32_e32 v3, 2, v3
	v_cndmask_b32_e32 v8, v5, v8, vcc_lo
	v_cmp_gt_i32_e32 vcc_lo, 32, v9
	ds_bpermute_b32 v7, v3, v2
	v_lshlrev_b32_e32 v8, 2, v8
	v_cndmask_b32_e32 v9, v5, v9, vcc_lo
	v_cmp_gt_i32_e32 vcc_lo, 32, v10
	v_lshlrev_b32_e32 v9, 2, v9
	v_cndmask_b32_e32 v10, v5, v10, vcc_lo
	v_cmp_gt_i32_e32 vcc_lo, 32, v11
	v_lshlrev_b32_e32 v10, 2, v10
	v_cndmask_b32_e32 v5, v5, v11, vcc_lo
	v_lshlrev_b32_e32 v5, 2, v5
	s_waitcnt lgkmcnt(0)
	v_max_f32_e32 v7, v7, v7
	v_max_f32_e32 v2, v2, v7
	ds_bpermute_b32 v7, v8, v2
	s_waitcnt lgkmcnt(0)
	v_max_f32_e32 v7, v7, v7
	v_max_f32_e32 v2, v2, v7
	ds_bpermute_b32 v7, v9, v2
	;; [unrolled: 4-line block ×4, first 2 shown]
	s_waitcnt lgkmcnt(0)
	v_max_f32_e32 v7, v7, v7
	v_max_f32_e32 v2, v2, v7
	v_sub_f32_e32 v2, v6, v2
	v_mul_f32_e32 v6, 0x3fb8aa3b, v2
	v_cmp_ngt_f32_e32 vcc_lo, 0xc2ce8ed0, v2
	v_fma_f32 v7, 0x3fb8aa3b, v2, -v6
	v_rndne_f32_e32 v11, v6
	v_fmamk_f32 v7, v2, 0x32a5705f, v7
	v_sub_f32_e32 v6, v6, v11
	v_add_f32_e32 v6, v6, v7
	v_cvt_i32_f32_e32 v7, v11
	v_exp_f32_e32 v6, v6
	v_ldexp_f32 v6, v6, v7
	v_cndmask_b32_e32 v6, 0, v6, vcc_lo
	v_cmp_nlt_f32_e32 vcc_lo, 0x42b17218, v2
	v_cndmask_b32_e32 v2, 0x7f800000, v6, vcc_lo
	v_cndmask_b32_e64 v6, 0, v2, s0
	ds_bpermute_b32 v3, v3, v6
	s_waitcnt lgkmcnt(0)
	v_add_f32_e32 v3, v6, v3
	ds_bpermute_b32 v6, v8, v3
	s_waitcnt lgkmcnt(0)
	v_add_f32_e32 v3, v3, v6
	;; [unrolled: 3-line block ×4, first 2 shown]
	v_mov_b32_e32 v6, 0
	ds_bpermute_b32 v5, v5, v3
	s_and_saveexec_b32 s2, s0
	s_cbranch_execz .LBB5_43
; %bb.42:
	s_waitcnt lgkmcnt(0)
	v_add_f32_e32 v3, v3, v5
	v_div_scale_f32 v5, null, v3, v3, 1.0
	v_rcp_f32_e32 v6, v5
	v_fma_f32 v7, -v5, v6, 1.0
	v_fmac_f32_e32 v6, v7, v6
	v_div_scale_f32 v7, vcc_lo, 1.0, v3, 1.0
	v_mul_f32_e32 v8, v7, v6
	v_fma_f32 v9, -v5, v8, v7
	v_fmac_f32_e32 v8, v9, v6
	v_fma_f32 v5, -v5, v8, v7
	v_div_fmas_f32 v5, v5, v6, v8
	v_div_fixup_f32 v3, v5, v3, 1.0
	v_mul_f32_e32 v6, v2, v3
.LBB5_43:
	s_or_b32 exec_lo, exec_lo, s2
	v_cmp_gt_i32_e32 vcc_lo, s1, v0
	s_and_b32 exec_lo, exec_lo, vcc_lo
	s_cbranch_execnz .LBB5_38
	s_branch .LBB5_39
	.section	.rodata,"a",@progbits
	.p2align	6, 0x0
	.amdhsa_kernel _Z13topk_moe_cudaILi32ELb1EEvPKfPfPiS2_iiff15topk_moe_config
		.amdhsa_group_segment_fixed_size 0
		.amdhsa_private_segment_fixed_size 0
		.amdhsa_kernarg_size 312
		.amdhsa_user_sgpr_count 6
		.amdhsa_user_sgpr_private_segment_buffer 1
		.amdhsa_user_sgpr_dispatch_ptr 0
		.amdhsa_user_sgpr_queue_ptr 0
		.amdhsa_user_sgpr_kernarg_segment_ptr 1
		.amdhsa_user_sgpr_dispatch_id 0
		.amdhsa_user_sgpr_flat_scratch_init 0
		.amdhsa_user_sgpr_private_segment_size 0
		.amdhsa_wavefront_size32 1
		.amdhsa_uses_dynamic_stack 0
		.amdhsa_system_sgpr_private_segment_wavefront_offset 0
		.amdhsa_system_sgpr_workgroup_id_x 1
		.amdhsa_system_sgpr_workgroup_id_y 0
		.amdhsa_system_sgpr_workgroup_id_z 0
		.amdhsa_system_sgpr_workgroup_info 0
		.amdhsa_system_vgpr_workitem_id 1
		.amdhsa_next_free_vgpr 23
		.amdhsa_next_free_sgpr 16
		.amdhsa_reserve_vcc 1
		.amdhsa_reserve_flat_scratch 0
		.amdhsa_float_round_mode_32 0
		.amdhsa_float_round_mode_16_64 0
		.amdhsa_float_denorm_mode_32 3
		.amdhsa_float_denorm_mode_16_64 3
		.amdhsa_dx10_clamp 1
		.amdhsa_ieee_mode 1
		.amdhsa_fp16_overflow 0
		.amdhsa_workgroup_processor_mode 1
		.amdhsa_memory_ordered 1
		.amdhsa_forward_progress 1
		.amdhsa_shared_vgpr_count 0
		.amdhsa_exception_fp_ieee_invalid_op 0
		.amdhsa_exception_fp_denorm_src 0
		.amdhsa_exception_fp_ieee_div_zero 0
		.amdhsa_exception_fp_ieee_overflow 0
		.amdhsa_exception_fp_ieee_underflow 0
		.amdhsa_exception_fp_ieee_inexact 0
		.amdhsa_exception_int_div_zero 0
	.end_amdhsa_kernel
	.section	.text._Z13topk_moe_cudaILi32ELb1EEvPKfPfPiS2_iiff15topk_moe_config,"axG",@progbits,_Z13topk_moe_cudaILi32ELb1EEvPKfPfPiS2_iiff15topk_moe_config,comdat
.Lfunc_end5:
	.size	_Z13topk_moe_cudaILi32ELb1EEvPKfPfPiS2_iiff15topk_moe_config, .Lfunc_end5-_Z13topk_moe_cudaILi32ELb1EEvPKfPfPiS2_iiff15topk_moe_config
                                        ; -- End function
	.set _Z13topk_moe_cudaILi32ELb1EEvPKfPfPiS2_iiff15topk_moe_config.num_vgpr, 23
	.set _Z13topk_moe_cudaILi32ELb1EEvPKfPfPiS2_iiff15topk_moe_config.num_agpr, 0
	.set _Z13topk_moe_cudaILi32ELb1EEvPKfPfPiS2_iiff15topk_moe_config.numbered_sgpr, 16
	.set _Z13topk_moe_cudaILi32ELb1EEvPKfPfPiS2_iiff15topk_moe_config.num_named_barrier, 0
	.set _Z13topk_moe_cudaILi32ELb1EEvPKfPfPiS2_iiff15topk_moe_config.private_seg_size, 0
	.set _Z13topk_moe_cudaILi32ELb1EEvPKfPfPiS2_iiff15topk_moe_config.uses_vcc, 1
	.set _Z13topk_moe_cudaILi32ELb1EEvPKfPfPiS2_iiff15topk_moe_config.uses_flat_scratch, 0
	.set _Z13topk_moe_cudaILi32ELb1EEvPKfPfPiS2_iiff15topk_moe_config.has_dyn_sized_stack, 0
	.set _Z13topk_moe_cudaILi32ELb1EEvPKfPfPiS2_iiff15topk_moe_config.has_recursion, 0
	.set _Z13topk_moe_cudaILi32ELb1EEvPKfPfPiS2_iiff15topk_moe_config.has_indirect_call, 0
	.section	.AMDGPU.csdata,"",@progbits
; Kernel info:
; codeLenInByte = 2644
; TotalNumSgprs: 18
; NumVgprs: 23
; ScratchSize: 0
; MemoryBound: 0
; FloatMode: 240
; IeeeMode: 1
; LDSByteSize: 0 bytes/workgroup (compile time only)
; SGPRBlocks: 0
; VGPRBlocks: 2
; NumSGPRsForWavesPerEU: 18
; NumVGPRsForWavesPerEU: 23
; Occupancy: 16
; WaveLimiterHint : 0
; COMPUTE_PGM_RSRC2:SCRATCH_EN: 0
; COMPUTE_PGM_RSRC2:USER_SGPR: 6
; COMPUTE_PGM_RSRC2:TRAP_HANDLER: 0
; COMPUTE_PGM_RSRC2:TGID_X_EN: 1
; COMPUTE_PGM_RSRC2:TGID_Y_EN: 0
; COMPUTE_PGM_RSRC2:TGID_Z_EN: 0
; COMPUTE_PGM_RSRC2:TIDIG_COMP_CNT: 1
	.section	.text._Z13topk_moe_cudaILi64ELb1EEvPKfPfPiS2_iiff15topk_moe_config,"axG",@progbits,_Z13topk_moe_cudaILi64ELb1EEvPKfPfPiS2_iiff15topk_moe_config,comdat
	.protected	_Z13topk_moe_cudaILi64ELb1EEvPKfPfPiS2_iiff15topk_moe_config ; -- Begin function _Z13topk_moe_cudaILi64ELb1EEvPKfPfPiS2_iiff15topk_moe_config
	.globl	_Z13topk_moe_cudaILi64ELb1EEvPKfPfPiS2_iiff15topk_moe_config
	.p2align	8
	.type	_Z13topk_moe_cudaILi64ELb1EEvPKfPfPiS2_iiff15topk_moe_config,@function
_Z13topk_moe_cudaILi64ELb1EEvPKfPfPiS2_iiff15topk_moe_config: ; @_Z13topk_moe_cudaILi64ELb1EEvPKfPfPiS2_iiff15topk_moe_config
; %bb.0:
	s_clause 0x1
	s_load_dword s0, s[4:5], 0x44
	s_load_dwordx4 s[16:19], s[4:5], 0x20
	s_waitcnt lgkmcnt(0)
	s_lshr_b32 s0, s0, 16
	v_mad_u64_u32 v[1:2], null, s6, s0, v[1:2]
	s_mov_b32 s0, exec_lo
	v_cmpx_gt_i32_e64 s16, v1
	s_cbranch_execz .LBB6_45
; %bb.1:
	s_load_dwordx8 s[8:15], s[4:5], 0x0
	v_lshlrev_b32_e32 v2, 6, v1
	v_mov_b32_e32 v4, 0
	v_lshlrev_b32_e32 v8, 2, v0
	s_load_dword s0, s[4:5], 0x30
	v_ashrrev_i32_e32 v3, 31, v2
	global_load_ushort v6, v4, s[4:5] offset:48
	v_lshlrev_b64 v[2:3], 2, v[2:3]
	s_waitcnt lgkmcnt(0)
	v_add_co_u32 v4, vcc_lo, s8, v2
	v_add_co_ci_u32_e64 v5, null, s9, v3, vcc_lo
	v_add_co_u32 v9, vcc_lo, v4, v8
	v_add_co_ci_u32_e64 v10, null, 0, v5, vcc_lo
	s_clause 0x1
	global_load_dword v4, v[9:10], off
	global_load_dword v5, v[9:10], off offset:128
	s_waitcnt vmcnt(2)
	v_readfirstlane_b32 s1, v6
	s_and_b32 s2, 0xffff, s1
	s_bitcmp1_b32 s0, 16
	s_cselect_b32 s1, -1, 0
	s_and_b32 vcc_lo, exec_lo, s1
	s_cbranch_vccnz .LBB6_7
; %bb.2:
	v_and_b32_e32 v6, 1, v6
	s_mov_b32 s0, 0
	v_cmp_eq_u32_e32 vcc_lo, 0, v6
	s_cbranch_vccz .LBB6_4
; %bb.3:
	v_mbcnt_lo_u32_b32 v6, -1, 0
	s_waitcnt vmcnt(0)
	v_max3_f32 v9, v4, 0xff800000, v5
	v_xor_b32_e32 v7, 16, v6
	v_xor_b32_e32 v11, 8, v6
	;; [unrolled: 1-line block ×5, first 2 shown]
	v_cmp_gt_i32_e32 vcc_lo, 32, v7
	v_cndmask_b32_e32 v7, v6, v7, vcc_lo
	v_cmp_gt_i32_e32 vcc_lo, 32, v11
	v_lshlrev_b32_e32 v7, 2, v7
	v_cndmask_b32_e32 v11, v6, v11, vcc_lo
	v_cmp_gt_i32_e32 vcc_lo, 32, v12
	ds_bpermute_b32 v10, v7, v9
	v_lshlrev_b32_e32 v11, 2, v11
	v_cndmask_b32_e32 v12, v6, v12, vcc_lo
	v_cmp_gt_i32_e32 vcc_lo, 32, v13
	v_lshlrev_b32_e32 v12, 2, v12
	v_cndmask_b32_e32 v13, v6, v13, vcc_lo
	v_cmp_gt_i32_e32 vcc_lo, 32, v14
	v_lshlrev_b32_e32 v13, 2, v13
	v_cndmask_b32_e32 v6, v6, v14, vcc_lo
	v_lshlrev_b32_e32 v6, 2, v6
	s_waitcnt lgkmcnt(0)
	v_max_f32_e32 v10, v10, v10
	v_max_f32_e32 v9, v9, v10
	ds_bpermute_b32 v10, v11, v9
	s_waitcnt lgkmcnt(0)
	v_max_f32_e32 v10, v10, v10
	v_max_f32_e32 v9, v9, v10
	ds_bpermute_b32 v10, v12, v9
	;; [unrolled: 4-line block ×4, first 2 shown]
	s_waitcnt lgkmcnt(0)
	v_max_f32_e32 v10, v10, v10
	v_max_f32_e32 v9, v9, v10
	v_sub_f32_e32 v10, v4, v9
	v_sub_f32_e32 v9, v5, v9
	v_mul_f32_e32 v14, 0x3fb8aa3b, v10
	v_mul_f32_e32 v15, 0x3fb8aa3b, v9
	v_cmp_ngt_f32_e32 vcc_lo, 0xc2ce8ed0, v10
	v_fma_f32 v16, 0x3fb8aa3b, v10, -v14
	v_rndne_f32_e32 v17, v14
	v_fma_f32 v18, 0x3fb8aa3b, v9, -v15
	v_rndne_f32_e32 v19, v15
	v_fmac_f32_e32 v16, 0x32a5705f, v10
	v_sub_f32_e32 v14, v14, v17
	v_fmac_f32_e32 v18, 0x32a5705f, v9
	v_sub_f32_e32 v15, v15, v19
	v_add_f32_e32 v14, v14, v16
	v_cvt_i32_f32_e32 v16, v17
	v_add_f32_e32 v15, v15, v18
	v_cvt_i32_f32_e32 v17, v19
	v_exp_f32_e32 v14, v14
	v_exp_f32_e32 v15, v15
	v_ldexp_f32 v14, v14, v16
	v_ldexp_f32 v15, v15, v17
	v_cndmask_b32_e32 v14, 0, v14, vcc_lo
	v_cmp_ngt_f32_e32 vcc_lo, 0xc2ce8ed0, v9
	v_cndmask_b32_e32 v15, 0, v15, vcc_lo
	v_cmp_nlt_f32_e32 vcc_lo, 0x42b17218, v10
	v_cndmask_b32_e32 v10, 0x7f800000, v14, vcc_lo
	v_cmp_nlt_f32_e32 vcc_lo, 0x42b17218, v9
	v_cndmask_b32_e32 v9, 0x7f800000, v15, vcc_lo
	v_add_f32_e32 v14, v10, v9
	ds_bpermute_b32 v7, v7, v14
	s_waitcnt lgkmcnt(0)
	v_add_f32_e32 v7, v14, v7
	ds_bpermute_b32 v11, v11, v7
	s_waitcnt lgkmcnt(0)
	;; [unrolled: 3-line block ×5, first 2 shown]
	v_add_f32_e32 v6, v7, v6
	v_div_scale_f32 v7, null, v6, v6, 1.0
	v_div_scale_f32 v13, vcc_lo, 1.0, v6, 1.0
	v_rcp_f32_e32 v11, v7
	v_fma_f32 v12, -v7, v11, 1.0
	v_fmac_f32_e32 v11, v12, v11
	v_mul_f32_e32 v12, v13, v11
	v_fma_f32 v14, -v7, v12, v13
	v_fmac_f32_e32 v12, v14, v11
	v_fma_f32 v7, -v7, v12, v13
	v_div_fmas_f32 v7, v7, v11, v12
	v_div_fixup_f32 v7, v7, v6, 1.0
	v_mul_f32_e32 v6, v10, v7
	v_mul_f32_e32 v7, v9, v7
	s_andn2_b32 vcc_lo, exec_lo, s0
	s_cbranch_vccz .LBB6_5
	s_branch .LBB6_6
.LBB6_4:
                                        ; implicit-def: $vgpr6_vgpr7
.LBB6_5:
	s_waitcnt vmcnt(1)
	v_mul_f32_e32 v6, 0xbfb8aa3b, v4
	s_waitcnt vmcnt(0)
	v_mul_f32_e32 v7, 0xbfb8aa3b, v5
	v_cmp_nlt_f32_e32 vcc_lo, 0x42ce8ed0, v4
	v_rndne_f32_e32 v9, v6
	v_fma_f32 v10, 0xbfb8aa3b, v4, -v6
	v_rndne_f32_e32 v11, v7
	v_fma_f32 v12, 0xbfb8aa3b, v5, -v7
	v_sub_f32_e32 v6, v6, v9
	v_fmac_f32_e32 v10, 0xb2a5705f, v4
	v_sub_f32_e32 v7, v7, v11
	v_fmac_f32_e32 v12, 0xb2a5705f, v5
	v_cvt_i32_f32_e32 v9, v9
	v_add_f32_e32 v6, v6, v10
	v_cvt_i32_f32_e32 v10, v11
	v_add_f32_e32 v7, v7, v12
	v_exp_f32_e32 v6, v6
	v_exp_f32_e32 v7, v7
	v_ldexp_f32 v6, v6, v9
	v_ldexp_f32 v7, v7, v10
	v_cndmask_b32_e32 v6, 0, v6, vcc_lo
	v_cmp_nlt_f32_e32 vcc_lo, 0x42ce8ed0, v5
	v_cndmask_b32_e32 v7, 0, v7, vcc_lo
	v_cmp_ngt_f32_e32 vcc_lo, 0xc2b17218, v4
	v_cndmask_b32_e32 v4, 0x7f800000, v6, vcc_lo
	v_cmp_ngt_f32_e32 vcc_lo, 0xc2b17218, v5
	v_add_f32_e32 v4, 1.0, v4
	v_cndmask_b32_e32 v5, 0x7f800000, v7, vcc_lo
	v_div_scale_f32 v6, null, v4, v4, 1.0
	v_add_f32_e32 v5, 1.0, v5
	v_div_scale_f32 v13, vcc_lo, 1.0, v4, 1.0
	v_rcp_f32_e32 v9, v6
	v_div_scale_f32 v7, null, v5, v5, 1.0
	v_rcp_f32_e32 v10, v7
	v_fma_f32 v11, -v6, v9, 1.0
	v_fmac_f32_e32 v9, v11, v9
	v_div_scale_f32 v11, s0, 1.0, v5, 1.0
	v_fma_f32 v12, -v7, v10, 1.0
	v_fmac_f32_e32 v10, v12, v10
	v_mul_f32_e32 v12, v13, v9
	v_mul_f32_e32 v14, v11, v10
	v_fma_f32 v15, -v6, v12, v13
	v_fma_f32 v16, -v7, v14, v11
	v_fmac_f32_e32 v12, v15, v9
	v_fmac_f32_e32 v14, v16, v10
	v_fma_f32 v6, -v6, v12, v13
	v_fma_f32 v7, -v7, v14, v11
	v_div_fmas_f32 v6, v6, v9, v12
	s_mov_b32 vcc_lo, s0
	v_div_fmas_f32 v7, v7, v10, v14
	v_div_fixup_f32 v6, v6, v4, 1.0
	v_div_fixup_f32 v7, v7, v5, 1.0
.LBB6_6:
	s_waitcnt vmcnt(0)
	v_mov_b32_e32 v4, v6
	v_mov_b32_e32 v5, v7
.LBB6_7:
	s_lshr_b32 s0, s2, 8
	s_cmp_gt_i32 s17, 0
	s_mov_b32 s3, 0
	s_cbranch_scc1 .LBB6_9
; %bb.8:
	s_bitcmp1_b32 s0, 0
	s_cselect_b32 s2, -1, 0
	s_branch .LBB6_10
.LBB6_9:
	s_mov_b32 s3, -1
                                        ; implicit-def: $sgpr2
.LBB6_10:
	v_add_nc_u32_e32 v6, 32, v0
	v_mov_b32_e32 v9, 0
	v_mbcnt_lo_u32_b32 v7, -1, 0
	v_mov_b32_e32 v10, 0
	v_mov_b32_e32 v11, 0
	s_andn2_b32 vcc_lo, exec_lo, s3
	s_cbranch_vccnz .LBB6_37
; %bb.11:
	s_clause 0x1
	global_load_dword v9, v8, s[14:15]
	global_load_dword v18, v8, s[14:15] offset:128
	s_waitcnt vmcnt(3)
	v_cmp_u_f32_e32 vcc_lo, v4, v4
	v_xor_b32_e32 v12, 16, v7
	v_xor_b32_e32 v13, 8, v7
	;; [unrolled: 1-line block ×4, first 2 shown]
	v_cndmask_b32_e64 v4, v4, 0xff7fffff, vcc_lo
	s_waitcnt vmcnt(2)
	v_cmp_o_f32_e32 vcc_lo, v5, v5
	v_xor_b32_e32 v16, 1, v7
	v_mov_b32_e32 v11, 0
	v_mov_b32_e32 v10, 0
	s_bitcmp1_b32 s0, 0
	v_cndmask_b32_e32 v5, 0xff7fffff, v5, vcc_lo
	v_add_co_u32 v2, vcc_lo, s12, v2
	v_add_co_ci_u32_e64 v3, null, s13, v3, vcc_lo
	v_cmp_gt_i32_e32 vcc_lo, 32, v12
	s_mov_b32 s3, 0
	s_cselect_b32 s2, -1, 0
	v_cndmask_b32_e32 v12, v7, v12, vcc_lo
	v_cmp_gt_i32_e32 vcc_lo, 32, v13
	v_lshlrev_b32_e32 v12, 2, v12
	v_cndmask_b32_e32 v13, v7, v13, vcc_lo
	v_cmp_gt_i32_e32 vcc_lo, 32, v14
	v_lshlrev_b32_e32 v13, 2, v13
	;; [unrolled: 3-line block ×4, first 2 shown]
	v_cndmask_b32_e32 v16, v7, v16, vcc_lo
	v_lshlrev_b32_e32 v16, 2, v16
	s_waitcnt vmcnt(1)
	v_add_f32_e32 v17, v4, v9
	s_waitcnt vmcnt(0)
	v_add_f32_e32 v18, v5, v18
	v_mov_b32_e32 v9, 0
	s_branch .LBB6_13
.LBB6_12:                               ;   in Loop: Header=BB6_13 Depth=1
	s_or_b32 exec_lo, exec_lo, s0
	s_lshr_b32 s0, s3, 5
	s_and_b32 s4, s3, 31
	s_cmp_eq_u32 s0, 1
	s_cselect_b32 vcc_lo, -1, 0
	s_cmp_eq_u32 s0, 0
	v_cndmask_b32_e32 v20, v9, v19, vcc_lo
	s_cselect_b32 vcc_lo, -1, 0
	s_add_i32 s3, s3, 1
	v_cndmask_b32_e32 v19, v10, v19, vcc_lo
	v_cmp_eq_u32_e32 vcc_lo, s4, v0
	s_cmp_eq_u32 s17, s3
	v_cndmask_b32_e32 v10, v10, v19, vcc_lo
	v_cndmask_b32_e32 v9, v9, v20, vcc_lo
	v_add_co_u32 v2, vcc_lo, v2, 4
	v_add_co_ci_u32_e64 v3, null, 0, v3, vcc_lo
	s_cbranch_scc1 .LBB6_37
.LBB6_13:                               ; =>This Inner Loop Header: Depth=1
	v_cmp_gt_f32_e32 vcc_lo, v18, v17
	s_mov_b32 s5, exec_lo
	v_cndmask_b32_e32 v21, v17, v18, vcc_lo
	v_cndmask_b32_e32 v19, v4, v5, vcc_lo
	;; [unrolled: 1-line block ×3, first 2 shown]
	s_waitcnt lgkmcnt(0)
	ds_bpermute_b32 v22, v12, v21
	ds_bpermute_b32 v24, v12, v19
	;; [unrolled: 1-line block ×3, first 2 shown]
	s_waitcnt lgkmcnt(2)
	v_cmp_lt_f32_e64 s4, v21, v22
	v_cmpx_nlt_f32_e32 v21, v22
	s_cbranch_execz .LBB6_15
; %bb.14:                               ;   in Loop: Header=BB6_13 Depth=1
	v_cmp_eq_f32_e32 vcc_lo, v21, v22
	s_waitcnt lgkmcnt(0)
	v_cmp_lt_i32_e64 s0, v23, v20
	s_andn2_b32 s4, s4, exec_lo
	s_and_b32 s0, vcc_lo, s0
	s_and_b32 s0, s0, exec_lo
	s_or_b32 s4, s4, s0
.LBB6_15:                               ;   in Loop: Header=BB6_13 Depth=1
	s_or_b32 exec_lo, exec_lo, s5
	s_and_saveexec_b32 s0, s4
	s_cbranch_execz .LBB6_17
; %bb.16:                               ;   in Loop: Header=BB6_13 Depth=1
	v_mov_b32_e32 v21, v22
	s_waitcnt lgkmcnt(1)
	v_mov_b32_e32 v19, v24
	s_waitcnt lgkmcnt(0)
	v_mov_b32_e32 v20, v23
.LBB6_17:                               ;   in Loop: Header=BB6_13 Depth=1
	s_or_b32 exec_lo, exec_lo, s0
	s_waitcnt lgkmcnt(1)
	ds_bpermute_b32 v24, v13, v21
	s_waitcnt lgkmcnt(1)
	ds_bpermute_b32 v23, v13, v19
	ds_bpermute_b32 v22, v13, v20
	s_mov_b32 s5, exec_lo
	s_waitcnt lgkmcnt(2)
	v_cmp_lt_f32_e64 s4, v21, v24
	v_cmpx_nlt_f32_e32 v21, v24
	s_cbranch_execz .LBB6_19
; %bb.18:                               ;   in Loop: Header=BB6_13 Depth=1
	v_cmp_eq_f32_e32 vcc_lo, v21, v24
	s_waitcnt lgkmcnt(0)
	v_cmp_lt_i32_e64 s0, v22, v20
	s_andn2_b32 s4, s4, exec_lo
	s_and_b32 s0, vcc_lo, s0
	s_and_b32 s0, s0, exec_lo
	s_or_b32 s4, s4, s0
.LBB6_19:                               ;   in Loop: Header=BB6_13 Depth=1
	s_or_b32 exec_lo, exec_lo, s5
	s_and_saveexec_b32 s0, s4
	s_cbranch_execz .LBB6_21
; %bb.20:                               ;   in Loop: Header=BB6_13 Depth=1
	v_mov_b32_e32 v21, v24
	s_waitcnt lgkmcnt(1)
	v_mov_b32_e32 v19, v23
	s_waitcnt lgkmcnt(0)
	v_mov_b32_e32 v20, v22
.LBB6_21:                               ;   in Loop: Header=BB6_13 Depth=1
	s_or_b32 exec_lo, exec_lo, s0
	ds_bpermute_b32 v24, v14, v21
	s_waitcnt lgkmcnt(2)
	ds_bpermute_b32 v23, v14, v19
	s_waitcnt lgkmcnt(2)
	ds_bpermute_b32 v22, v14, v20
	s_mov_b32 s5, exec_lo
	s_waitcnt lgkmcnt(2)
	v_cmp_lt_f32_e64 s4, v21, v24
	v_cmpx_nlt_f32_e32 v21, v24
	s_cbranch_execz .LBB6_23
; %bb.22:                               ;   in Loop: Header=BB6_13 Depth=1
	v_cmp_eq_f32_e32 vcc_lo, v21, v24
	s_waitcnt lgkmcnt(0)
	v_cmp_lt_i32_e64 s0, v22, v20
	s_andn2_b32 s4, s4, exec_lo
	s_and_b32 s0, vcc_lo, s0
	s_and_b32 s0, s0, exec_lo
	s_or_b32 s4, s4, s0
.LBB6_23:                               ;   in Loop: Header=BB6_13 Depth=1
	s_or_b32 exec_lo, exec_lo, s5
	s_and_saveexec_b32 s0, s4
	s_cbranch_execz .LBB6_25
; %bb.24:                               ;   in Loop: Header=BB6_13 Depth=1
	v_mov_b32_e32 v21, v24
	s_waitcnt lgkmcnt(1)
	v_mov_b32_e32 v19, v23
	s_waitcnt lgkmcnt(0)
	v_mov_b32_e32 v20, v22
.LBB6_25:                               ;   in Loop: Header=BB6_13 Depth=1
	s_or_b32 exec_lo, exec_lo, s0
	ds_bpermute_b32 v24, v15, v21
	s_waitcnt lgkmcnt(2)
	ds_bpermute_b32 v23, v15, v19
	s_waitcnt lgkmcnt(2)
	;; [unrolled: 30-line block ×3, first 2 shown]
	ds_bpermute_b32 v22, v16, v20
	s_mov_b32 s5, exec_lo
	s_waitcnt lgkmcnt(2)
	v_cmp_lt_f32_e64 s4, v21, v24
	v_cmpx_nlt_f32_e32 v21, v24
	s_cbranch_execz .LBB6_31
; %bb.30:                               ;   in Loop: Header=BB6_13 Depth=1
	v_cmp_eq_f32_e32 vcc_lo, v21, v24
	s_waitcnt lgkmcnt(0)
	v_cmp_lt_i32_e64 s0, v22, v20
	s_andn2_b32 s4, s4, exec_lo
	s_and_b32 s0, vcc_lo, s0
	s_and_b32 s0, s0, exec_lo
	s_or_b32 s4, s4, s0
.LBB6_31:                               ;   in Loop: Header=BB6_13 Depth=1
	s_or_b32 exec_lo, exec_lo, s5
	s_and_saveexec_b32 s0, s4
	s_cbranch_execz .LBB6_33
; %bb.32:                               ;   in Loop: Header=BB6_13 Depth=1
	s_waitcnt lgkmcnt(1)
	v_mov_b32_e32 v19, v23
	s_waitcnt lgkmcnt(0)
	v_mov_b32_e32 v20, v22
.LBB6_33:                               ;   in Loop: Header=BB6_13 Depth=1
	s_or_b32 exec_lo, exec_lo, s0
	v_and_b32_e32 v21, 31, v20
	v_cmp_eq_u32_e32 vcc_lo, v21, v0
	s_and_saveexec_b32 s4, vcc_lo
	s_cbranch_execz .LBB6_35
; %bb.34:                               ;   in Loop: Header=BB6_13 Depth=1
	v_ashrrev_i32_e32 v21, 31, v20
	v_lshrrev_b32_e32 v21, 27, v21
	v_add_nc_u32_e32 v21, v20, v21
	v_ashrrev_i32_e32 v21, 5, v21
	v_cmp_ne_u32_e64 s0, 1, v21
	v_cndmask_b32_e64 v18, 0xff800000, v18, s0
	v_cmp_ne_u32_e64 s0, 0, v21
	v_cndmask_b32_e64 v17, 0xff800000, v17, s0
.LBB6_35:                               ;   in Loop: Header=BB6_13 Depth=1
	s_or_b32 exec_lo, exec_lo, s4
	s_and_saveexec_b32 s0, vcc_lo
	s_cbranch_execz .LBB6_12
; %bb.36:                               ;   in Loop: Header=BB6_13 Depth=1
	v_add_f32_e32 v21, v11, v19
	global_store_dword v[2:3], v20, off
	v_cndmask_b32_e64 v11, v11, v21, s2
	s_branch .LBB6_12
.LBB6_37:
	s_and_b32 vcc_lo, exec_lo, s2
	s_cbranch_vccz .LBB6_39
; %bb.38:
	v_xor_b32_e32 v2, 16, v7
	v_xor_b32_e32 v3, 8, v7
	s_waitcnt vmcnt(1)
	v_xor_b32_e32 v4, 4, v7
	v_cmp_gt_i32_e32 vcc_lo, 32, v2
	v_cndmask_b32_e32 v2, v7, v2, vcc_lo
	v_cmp_gt_i32_e32 vcc_lo, 32, v3
	v_lshlrev_b32_e32 v2, 2, v2
	v_cndmask_b32_e32 v3, v7, v3, vcc_lo
	v_cmp_gt_i32_e32 vcc_lo, 32, v4
	ds_bpermute_b32 v2, v2, v11
	v_lshlrev_b32_e32 v3, 2, v3
	v_cndmask_b32_e32 v4, v7, v4, vcc_lo
	v_lshlrev_b32_e32 v4, 2, v4
	s_waitcnt lgkmcnt(0)
	v_add_f32_e32 v2, v11, v2
	ds_bpermute_b32 v3, v3, v2
	s_waitcnt lgkmcnt(0)
	v_add_f32_e32 v2, v2, v3
	ds_bpermute_b32 v3, v4, v2
	v_xor_b32_e32 v4, 2, v7
	v_cmp_gt_i32_e32 vcc_lo, 32, v4
	v_cndmask_b32_e32 v4, v7, v4, vcc_lo
	v_lshlrev_b32_e32 v4, 2, v4
	s_waitcnt lgkmcnt(0)
	v_add_f32_e32 v2, v2, v3
	ds_bpermute_b32 v3, v4, v2
	v_xor_b32_e32 v4, 1, v7
	v_cmp_gt_i32_e32 vcc_lo, 32, v4
	v_cndmask_b32_e32 v4, v7, v4, vcc_lo
	v_lshlrev_b32_e32 v4, 2, v4
	s_waitcnt lgkmcnt(0)
	v_add_f32_e32 v2, v2, v3
	ds_bpermute_b32 v3, v4, v2
	v_max_f32_e64 v4, s18, s18
	s_waitcnt lgkmcnt(0)
	v_add_f32_e32 v2, v2, v3
	v_max_f32_e32 v2, v2, v4
	v_div_scale_f32 v3, null, v2, v2, 1.0
	v_div_scale_f32 v11, vcc_lo, 1.0, v2, 1.0
	v_rcp_f32_e32 v4, v3
	s_waitcnt vmcnt(0)
	v_fma_f32 v5, -v3, v4, 1.0
	v_fmac_f32_e32 v4, v5, v4
	v_mul_f32_e32 v5, v11, v4
	v_fma_f32 v12, -v3, v5, v11
	v_fmac_f32_e32 v5, v12, v4
	v_fma_f32 v3, -v3, v5, v11
	v_div_fmas_f32 v3, v3, v4, v5
	v_div_fixup_f32 v2, v3, v2, 1.0
	v_mul_f32_e32 v10, v2, v10
	v_mul_f32_e32 v9, v2, v9
.LBB6_39:
	v_cmp_gt_i32_e64 s0, s17, v6
	s_andn2_b32 vcc_lo, exec_lo, s1
	s_cbranch_vccnz .LBB6_41
; %bb.40:
	v_max_f32_e32 v2, v10, v10
	s_waitcnt vmcnt(1)
	v_xor_b32_e32 v4, 16, v7
	v_cmp_gt_i32_e64 s1, s17, v0
	v_max_f32_e32 v3, v9, v9
	s_waitcnt vmcnt(0)
	v_xor_b32_e32 v5, 8, v7
	v_max_f32_e32 v2, 0xff800000, v2
	v_cmp_gt_i32_e32 vcc_lo, 32, v4
	v_xor_b32_e32 v11, 4, v7
	v_xor_b32_e32 v12, 2, v7
	;; [unrolled: 1-line block ×3, first 2 shown]
	v_cndmask_b32_e64 v2, 0xff800000, v2, s1
	v_cndmask_b32_e32 v4, v7, v4, vcc_lo
	v_cmp_gt_i32_e32 vcc_lo, 32, v5
	v_max_f32_e32 v3, v2, v3
	v_lshlrev_b32_e32 v4, 2, v4
	v_cndmask_b32_e32 v5, v7, v5, vcc_lo
	v_cmp_gt_i32_e32 vcc_lo, 32, v11
	v_cndmask_b32_e64 v2, v2, v3, s0
	v_lshlrev_b32_e32 v5, 2, v5
	v_cndmask_b32_e32 v11, v7, v11, vcc_lo
	v_cmp_gt_i32_e32 vcc_lo, 32, v12
	ds_bpermute_b32 v3, v4, v2
	v_lshlrev_b32_e32 v11, 2, v11
	v_cndmask_b32_e32 v12, v7, v12, vcc_lo
	v_cmp_gt_i32_e32 vcc_lo, 32, v13
	v_lshlrev_b32_e32 v12, 2, v12
	v_cndmask_b32_e32 v7, v7, v13, vcc_lo
	v_lshlrev_b32_e32 v7, 2, v7
	s_waitcnt lgkmcnt(0)
	v_max_f32_e32 v3, v3, v3
	v_max_f32_e32 v2, v2, v3
	ds_bpermute_b32 v3, v5, v2
	s_waitcnt lgkmcnt(0)
	v_max_f32_e32 v3, v3, v3
	v_max_f32_e32 v2, v2, v3
	ds_bpermute_b32 v3, v11, v2
	;; [unrolled: 4-line block ×4, first 2 shown]
	s_waitcnt lgkmcnt(0)
	v_max_f32_e32 v3, v3, v3
	v_max_f32_e32 v2, v2, v3
	v_sub_f32_e32 v3, v10, v2
	v_sub_f32_e32 v2, v9, v2
	v_mul_f32_e32 v9, 0x3fb8aa3b, v3
	v_mul_f32_e32 v10, 0x3fb8aa3b, v2
	v_cmp_ngt_f32_e32 vcc_lo, 0xc2ce8ed0, v3
	v_fma_f32 v13, 0x3fb8aa3b, v3, -v9
	v_rndne_f32_e32 v14, v9
	v_fma_f32 v15, 0x3fb8aa3b, v2, -v10
	v_rndne_f32_e32 v16, v10
	v_fmac_f32_e32 v13, 0x32a5705f, v3
	v_sub_f32_e32 v9, v9, v14
	v_fmac_f32_e32 v15, 0x32a5705f, v2
	v_sub_f32_e32 v10, v10, v16
	v_add_f32_e32 v9, v9, v13
	v_cvt_i32_f32_e32 v13, v14
	v_add_f32_e32 v10, v10, v15
	v_cvt_i32_f32_e32 v14, v16
	v_exp_f32_e32 v9, v9
	v_exp_f32_e32 v10, v10
	v_ldexp_f32 v9, v9, v13
	v_ldexp_f32 v10, v10, v14
	v_cndmask_b32_e32 v9, 0, v9, vcc_lo
	v_cmp_ngt_f32_e32 vcc_lo, 0xc2ce8ed0, v2
	v_cndmask_b32_e32 v10, 0, v10, vcc_lo
	v_cmp_nlt_f32_e32 vcc_lo, 0x42b17218, v3
	v_cndmask_b32_e32 v3, 0x7f800000, v9, vcc_lo
	v_cmp_nlt_f32_e32 vcc_lo, 0x42b17218, v2
	v_cndmask_b32_e64 v3, 0, v3, s1
	v_cndmask_b32_e32 v2, 0x7f800000, v10, vcc_lo
	v_add_f32_e32 v9, v2, v3
	v_cndmask_b32_e64 v2, 0, v2, s0
	v_cndmask_b32_e64 v9, v3, v9, s0
	ds_bpermute_b32 v4, v4, v9
	s_waitcnt lgkmcnt(0)
	v_add_f32_e32 v4, v9, v4
	ds_bpermute_b32 v5, v5, v4
	s_waitcnt lgkmcnt(0)
	v_add_f32_e32 v4, v4, v5
	;; [unrolled: 3-line block ×5, first 2 shown]
	v_div_scale_f32 v5, null, v4, v4, 1.0
	v_div_scale_f32 v10, vcc_lo, 1.0, v4, 1.0
	v_rcp_f32_e32 v7, v5
	v_fma_f32 v9, -v5, v7, 1.0
	v_fmac_f32_e32 v7, v9, v7
	v_mul_f32_e32 v9, v10, v7
	v_fma_f32 v11, -v5, v9, v10
	v_fmac_f32_e32 v9, v11, v7
	v_fma_f32 v5, -v5, v9, v10
	v_div_fmas_f32 v5, v5, v7, v9
	v_div_fixup_f32 v4, v5, v4, 1.0
	v_mul_f32_e32 v5, v3, v4
	v_mul_f32_e32 v4, v2, v4
	v_cndmask_b32_e64 v10, v3, v5, s1
	v_cndmask_b32_e64 v9, v2, v4, s0
.LBB6_41:
	v_mul_lo_u32 v1, v1, s17
	s_mov_b32 s0, exec_lo
	v_ashrrev_i32_e32 v2, 31, v1
	v_lshlrev_b64 v[1:2], 2, v[1:2]
	v_add_co_u32 v1, vcc_lo, s10, v1
	v_add_co_ci_u32_e64 v2, null, s11, v2, vcc_lo
	v_cmpx_gt_i32_e64 s17, v0
	s_cbranch_execz .LBB6_43
; %bb.42:
	v_add_co_u32 v3, vcc_lo, v1, v8
	s_waitcnt vmcnt(1)
	v_add_co_ci_u32_e64 v4, null, 0, v2, vcc_lo
	v_mul_f32_e32 v0, s19, v10
	global_store_dword v[3:4], v0, off
.LBB6_43:
	s_or_b32 exec_lo, exec_lo, s0
	v_cmp_gt_i32_e32 vcc_lo, s17, v6
	s_and_b32 exec_lo, exec_lo, vcc_lo
	s_cbranch_execz .LBB6_45
; %bb.44:
	v_add_co_u32 v0, vcc_lo, v1, v8
	v_add_co_ci_u32_e64 v1, null, 0, v2, vcc_lo
	v_mul_f32_e32 v2, s19, v9
	global_store_dword v[0:1], v2, off offset:128
.LBB6_45:
	s_endpgm
	.section	.rodata,"a",@progbits
	.p2align	6, 0x0
	.amdhsa_kernel _Z13topk_moe_cudaILi64ELb1EEvPKfPfPiS2_iiff15topk_moe_config
		.amdhsa_group_segment_fixed_size 0
		.amdhsa_private_segment_fixed_size 0
		.amdhsa_kernarg_size 312
		.amdhsa_user_sgpr_count 6
		.amdhsa_user_sgpr_private_segment_buffer 1
		.amdhsa_user_sgpr_dispatch_ptr 0
		.amdhsa_user_sgpr_queue_ptr 0
		.amdhsa_user_sgpr_kernarg_segment_ptr 1
		.amdhsa_user_sgpr_dispatch_id 0
		.amdhsa_user_sgpr_flat_scratch_init 0
		.amdhsa_user_sgpr_private_segment_size 0
		.amdhsa_wavefront_size32 1
		.amdhsa_uses_dynamic_stack 0
		.amdhsa_system_sgpr_private_segment_wavefront_offset 0
		.amdhsa_system_sgpr_workgroup_id_x 1
		.amdhsa_system_sgpr_workgroup_id_y 0
		.amdhsa_system_sgpr_workgroup_id_z 0
		.amdhsa_system_sgpr_workgroup_info 0
		.amdhsa_system_vgpr_workitem_id 1
		.amdhsa_next_free_vgpr 25
		.amdhsa_next_free_sgpr 20
		.amdhsa_reserve_vcc 1
		.amdhsa_reserve_flat_scratch 0
		.amdhsa_float_round_mode_32 0
		.amdhsa_float_round_mode_16_64 0
		.amdhsa_float_denorm_mode_32 3
		.amdhsa_float_denorm_mode_16_64 3
		.amdhsa_dx10_clamp 1
		.amdhsa_ieee_mode 1
		.amdhsa_fp16_overflow 0
		.amdhsa_workgroup_processor_mode 1
		.amdhsa_memory_ordered 1
		.amdhsa_forward_progress 1
		.amdhsa_shared_vgpr_count 0
		.amdhsa_exception_fp_ieee_invalid_op 0
		.amdhsa_exception_fp_denorm_src 0
		.amdhsa_exception_fp_ieee_div_zero 0
		.amdhsa_exception_fp_ieee_overflow 0
		.amdhsa_exception_fp_ieee_underflow 0
		.amdhsa_exception_fp_ieee_inexact 0
		.amdhsa_exception_int_div_zero 0
	.end_amdhsa_kernel
	.section	.text._Z13topk_moe_cudaILi64ELb1EEvPKfPfPiS2_iiff15topk_moe_config,"axG",@progbits,_Z13topk_moe_cudaILi64ELb1EEvPKfPfPiS2_iiff15topk_moe_config,comdat
.Lfunc_end6:
	.size	_Z13topk_moe_cudaILi64ELb1EEvPKfPfPiS2_iiff15topk_moe_config, .Lfunc_end6-_Z13topk_moe_cudaILi64ELb1EEvPKfPfPiS2_iiff15topk_moe_config
                                        ; -- End function
	.set _Z13topk_moe_cudaILi64ELb1EEvPKfPfPiS2_iiff15topk_moe_config.num_vgpr, 25
	.set _Z13topk_moe_cudaILi64ELb1EEvPKfPfPiS2_iiff15topk_moe_config.num_agpr, 0
	.set _Z13topk_moe_cudaILi64ELb1EEvPKfPfPiS2_iiff15topk_moe_config.numbered_sgpr, 20
	.set _Z13topk_moe_cudaILi64ELb1EEvPKfPfPiS2_iiff15topk_moe_config.num_named_barrier, 0
	.set _Z13topk_moe_cudaILi64ELb1EEvPKfPfPiS2_iiff15topk_moe_config.private_seg_size, 0
	.set _Z13topk_moe_cudaILi64ELb1EEvPKfPfPiS2_iiff15topk_moe_config.uses_vcc, 1
	.set _Z13topk_moe_cudaILi64ELb1EEvPKfPfPiS2_iiff15topk_moe_config.uses_flat_scratch, 0
	.set _Z13topk_moe_cudaILi64ELb1EEvPKfPfPiS2_iiff15topk_moe_config.has_dyn_sized_stack, 0
	.set _Z13topk_moe_cudaILi64ELb1EEvPKfPfPiS2_iiff15topk_moe_config.has_recursion, 0
	.set _Z13topk_moe_cudaILi64ELb1EEvPKfPfPiS2_iiff15topk_moe_config.has_indirect_call, 0
	.section	.AMDGPU.csdata,"",@progbits
; Kernel info:
; codeLenInByte = 3208
; TotalNumSgprs: 22
; NumVgprs: 25
; ScratchSize: 0
; MemoryBound: 0
; FloatMode: 240
; IeeeMode: 1
; LDSByteSize: 0 bytes/workgroup (compile time only)
; SGPRBlocks: 0
; VGPRBlocks: 3
; NumSGPRsForWavesPerEU: 22
; NumVGPRsForWavesPerEU: 25
; Occupancy: 16
; WaveLimiterHint : 1
; COMPUTE_PGM_RSRC2:SCRATCH_EN: 0
; COMPUTE_PGM_RSRC2:USER_SGPR: 6
; COMPUTE_PGM_RSRC2:TRAP_HANDLER: 0
; COMPUTE_PGM_RSRC2:TGID_X_EN: 1
; COMPUTE_PGM_RSRC2:TGID_Y_EN: 0
; COMPUTE_PGM_RSRC2:TGID_Z_EN: 0
; COMPUTE_PGM_RSRC2:TIDIG_COMP_CNT: 1
	.section	.text._Z13topk_moe_cudaILi128ELb1EEvPKfPfPiS2_iiff15topk_moe_config,"axG",@progbits,_Z13topk_moe_cudaILi128ELb1EEvPKfPfPiS2_iiff15topk_moe_config,comdat
	.protected	_Z13topk_moe_cudaILi128ELb1EEvPKfPfPiS2_iiff15topk_moe_config ; -- Begin function _Z13topk_moe_cudaILi128ELb1EEvPKfPfPiS2_iiff15topk_moe_config
	.globl	_Z13topk_moe_cudaILi128ELb1EEvPKfPfPiS2_iiff15topk_moe_config
	.p2align	8
	.type	_Z13topk_moe_cudaILi128ELb1EEvPKfPfPiS2_iiff15topk_moe_config,@function
_Z13topk_moe_cudaILi128ELb1EEvPKfPfPiS2_iiff15topk_moe_config: ; @_Z13topk_moe_cudaILi128ELb1EEvPKfPfPiS2_iiff15topk_moe_config
; %bb.0:
	s_clause 0x1
	s_load_dword s0, s[4:5], 0x44
	s_load_dwordx4 s[16:19], s[4:5], 0x20
	s_waitcnt lgkmcnt(0)
	s_lshr_b32 s0, s0, 16
	v_mad_u64_u32 v[9:10], null, s6, s0, v[1:2]
	s_mov_b32 s0, exec_lo
	v_cmpx_gt_i32_e64 s16, v9
	s_cbranch_execz .LBB7_46
; %bb.1:
	s_load_dwordx8 s[8:15], s[4:5], 0x0
	v_lshlrev_b32_e32 v1, 7, v9
	v_mov_b32_e32 v3, 0
	v_lshlrev_b32_e32 v12, 2, v0
	s_load_dword s0, s[4:5], 0x30
	v_ashrrev_i32_e32 v2, 31, v1
	global_load_ushort v5, v3, s[4:5] offset:48
	v_lshlrev_b64 v[10:11], 2, v[1:2]
	s_waitcnt lgkmcnt(0)
	v_add_co_u32 v1, vcc_lo, s8, v10
	v_add_co_ci_u32_e64 v2, null, s9, v11, vcc_lo
	v_add_co_u32 v6, vcc_lo, v1, v12
	v_add_co_ci_u32_e64 v7, null, 0, v2, vcc_lo
	s_clause 0x3
	global_load_dword v1, v[6:7], off
	global_load_dword v2, v[6:7], off offset:128
	global_load_dword v3, v[6:7], off offset:256
	;; [unrolled: 1-line block ×3, first 2 shown]
	s_waitcnt vmcnt(4)
	v_readfirstlane_b32 s1, v5
	s_and_b32 s3, 0xffff, s1
	s_bitcmp1_b32 s0, 16
	s_cselect_b32 s4, -1, 0
	s_and_b32 vcc_lo, exec_lo, s4
	s_cbranch_vccnz .LBB7_7
; %bb.2:
	v_and_b32_e32 v5, 1, v5
	s_mov_b32 s0, 0
	v_cmp_eq_u32_e32 vcc_lo, 0, v5
	s_cbranch_vccz .LBB7_4
; %bb.3:
	v_mbcnt_lo_u32_b32 v5, -1, 0
	s_waitcnt vmcnt(2)
	v_max3_f32 v7, v1, 0xff800000, v2
	v_xor_b32_e32 v6, 16, v5
	s_waitcnt vmcnt(0)
	v_max3_f32 v7, v7, v3, v4
	v_xor_b32_e32 v13, 8, v5
	v_xor_b32_e32 v14, 4, v5
	;; [unrolled: 1-line block ×3, first 2 shown]
	v_cmp_gt_i32_e32 vcc_lo, 32, v6
	v_xor_b32_e32 v16, 1, v5
	v_cndmask_b32_e32 v6, v5, v6, vcc_lo
	v_cmp_gt_i32_e32 vcc_lo, 32, v13
	v_lshlrev_b32_e32 v6, 2, v6
	v_cndmask_b32_e32 v13, v5, v13, vcc_lo
	v_cmp_gt_i32_e32 vcc_lo, 32, v14
	ds_bpermute_b32 v8, v6, v7
	v_lshlrev_b32_e32 v13, 2, v13
	v_cndmask_b32_e32 v14, v5, v14, vcc_lo
	v_cmp_gt_i32_e32 vcc_lo, 32, v15
	v_lshlrev_b32_e32 v14, 2, v14
	v_cndmask_b32_e32 v15, v5, v15, vcc_lo
	v_cmp_gt_i32_e32 vcc_lo, 32, v16
	v_lshlrev_b32_e32 v15, 2, v15
	v_cndmask_b32_e32 v5, v5, v16, vcc_lo
	v_lshlrev_b32_e32 v5, 2, v5
	s_waitcnt lgkmcnt(0)
	v_max_f32_e32 v8, v8, v8
	v_max_f32_e32 v7, v7, v8
	ds_bpermute_b32 v8, v13, v7
	s_waitcnt lgkmcnt(0)
	v_max_f32_e32 v8, v8, v8
	v_max_f32_e32 v7, v7, v8
	ds_bpermute_b32 v8, v14, v7
	;; [unrolled: 4-line block ×4, first 2 shown]
	s_waitcnt lgkmcnt(0)
	v_max_f32_e32 v8, v8, v8
	v_max_f32_e32 v7, v7, v8
	v_sub_f32_e32 v8, v1, v7
	v_sub_f32_e32 v16, v2, v7
	;; [unrolled: 1-line block ×4, first 2 shown]
	v_mul_f32_e32 v18, 0x3fb8aa3b, v8
	v_mul_f32_e32 v19, 0x3fb8aa3b, v16
	;; [unrolled: 1-line block ×4, first 2 shown]
	v_cmp_ngt_f32_e32 vcc_lo, 0xc2ce8ed0, v8
	v_fma_f32 v22, 0x3fb8aa3b, v8, -v18
	v_rndne_f32_e32 v23, v18
	v_fma_f32 v24, 0x3fb8aa3b, v16, -v19
	v_rndne_f32_e32 v25, v19
	v_fma_f32 v26, 0x3fb8aa3b, v17, -v20
	v_fmac_f32_e32 v22, 0x32a5705f, v8
	v_sub_f32_e32 v18, v18, v23
	v_rndne_f32_e32 v27, v20
	v_fmac_f32_e32 v24, 0x32a5705f, v16
	v_sub_f32_e32 v19, v19, v25
	v_fmac_f32_e32 v26, 0x32a5705f, v17
	v_add_f32_e32 v18, v18, v22
	v_sub_f32_e32 v20, v20, v27
	v_cvt_i32_f32_e32 v22, v23
	v_add_f32_e32 v19, v19, v24
	v_fma_f32 v28, 0x3fb8aa3b, v7, -v21
	v_exp_f32_e32 v18, v18
	v_add_f32_e32 v20, v20, v26
	v_rndne_f32_e32 v29, v21
	v_exp_f32_e32 v19, v19
	v_cvt_i32_f32_e32 v23, v25
	v_fmac_f32_e32 v28, 0x32a5705f, v7
	v_exp_f32_e32 v20, v20
	v_sub_f32_e32 v21, v21, v29
	v_cvt_i32_f32_e32 v24, v27
	v_cvt_i32_f32_e32 v25, v29
	v_ldexp_f32 v18, v18, v22
	v_add_f32_e32 v21, v21, v28
	v_ldexp_f32 v19, v19, v23
	v_cndmask_b32_e32 v18, 0, v18, vcc_lo
	v_cmp_ngt_f32_e32 vcc_lo, 0xc2ce8ed0, v16
	v_ldexp_f32 v20, v20, v24
	v_exp_f32_e32 v21, v21
	v_cndmask_b32_e32 v19, 0, v19, vcc_lo
	v_cmp_ngt_f32_e32 vcc_lo, 0xc2ce8ed0, v17
	v_cndmask_b32_e32 v20, 0, v20, vcc_lo
	v_cmp_nlt_f32_e32 vcc_lo, 0x42b17218, v8
	v_ldexp_f32 v21, v21, v25
	v_cndmask_b32_e32 v8, 0x7f800000, v18, vcc_lo
	v_cmp_nlt_f32_e32 vcc_lo, 0x42b17218, v16
	v_cndmask_b32_e32 v16, 0x7f800000, v19, vcc_lo
	v_cmp_ngt_f32_e32 vcc_lo, 0xc2ce8ed0, v7
	v_add_f32_e32 v19, v8, v16
	v_cndmask_b32_e32 v18, 0, v21, vcc_lo
	v_cmp_nlt_f32_e32 vcc_lo, 0x42b17218, v17
	v_cndmask_b32_e32 v17, 0x7f800000, v20, vcc_lo
	v_cmp_nlt_f32_e32 vcc_lo, 0x42b17218, v7
	v_add_f32_e32 v7, v17, v19
	v_cndmask_b32_e32 v18, 0x7f800000, v18, vcc_lo
	v_add_f32_e32 v7, v18, v7
	ds_bpermute_b32 v6, v6, v7
	s_waitcnt lgkmcnt(0)
	v_add_f32_e32 v6, v7, v6
	ds_bpermute_b32 v7, v13, v6
	s_waitcnt lgkmcnt(0)
	;; [unrolled: 3-line block ×5, first 2 shown]
	v_add_f32_e32 v5, v6, v5
	v_div_scale_f32 v6, null, v5, v5, 1.0
	v_div_scale_f32 v14, vcc_lo, 1.0, v5, 1.0
	v_rcp_f32_e32 v7, v6
	v_fma_f32 v13, -v6, v7, 1.0
	v_fmac_f32_e32 v7, v13, v7
	v_mul_f32_e32 v13, v14, v7
	v_fma_f32 v15, -v6, v13, v14
	v_fmac_f32_e32 v13, v15, v7
	v_fma_f32 v6, -v6, v13, v14
	v_div_fmas_f32 v6, v6, v7, v13
	v_div_fixup_f32 v13, v6, v5, 1.0
	v_mul_f32_e32 v5, v8, v13
	v_mul_f32_e32 v6, v16, v13
	;; [unrolled: 1-line block ×4, first 2 shown]
	s_andn2_b32 vcc_lo, exec_lo, s0
	s_cbranch_vccz .LBB7_5
	s_branch .LBB7_6
.LBB7_4:
                                        ; implicit-def: $vgpr5_vgpr6_vgpr7_vgpr8
.LBB7_5:
	s_waitcnt vmcnt(3)
	v_mul_f32_e32 v5, 0xbfb8aa3b, v1
	s_waitcnt vmcnt(2)
	v_mul_f32_e32 v6, 0xbfb8aa3b, v2
	;; [unrolled: 2-line block ×4, first 2 shown]
	v_cmp_nlt_f32_e32 vcc_lo, 0x42ce8ed0, v1
	v_rndne_f32_e32 v13, v5
	v_fma_f32 v14, 0xbfb8aa3b, v1, -v5
	v_rndne_f32_e32 v15, v6
	v_fma_f32 v16, 0xbfb8aa3b, v2, -v6
	v_rndne_f32_e32 v17, v7
	v_sub_f32_e32 v5, v5, v13
	v_fmac_f32_e32 v14, 0xb2a5705f, v1
	v_fma_f32 v18, 0xbfb8aa3b, v3, -v7
	v_sub_f32_e32 v6, v6, v15
	v_fmac_f32_e32 v16, 0xb2a5705f, v2
	v_sub_f32_e32 v7, v7, v17
	v_add_f32_e32 v5, v5, v14
	v_fmac_f32_e32 v18, 0xb2a5705f, v3
	v_cvt_i32_f32_e32 v13, v13
	v_add_f32_e32 v6, v6, v16
	v_rndne_f32_e32 v19, v8
	v_exp_f32_e32 v5, v5
	v_add_f32_e32 v7, v7, v18
	v_fma_f32 v20, 0xbfb8aa3b, v4, -v8
	v_exp_f32_e32 v6, v6
	v_sub_f32_e32 v8, v8, v19
	v_cvt_i32_f32_e32 v14, v17
	v_exp_f32_e32 v7, v7
	v_fmac_f32_e32 v20, 0xb2a5705f, v4
	v_ldexp_f32 v5, v5, v13
	v_cvt_i32_f32_e32 v13, v15
	v_add_f32_e32 v8, v8, v20
	v_cvt_i32_f32_e32 v15, v19
	v_cndmask_b32_e32 v5, 0, v5, vcc_lo
	v_cmp_ngt_f32_e32 vcc_lo, 0xc2b17218, v1
	v_ldexp_f32 v6, v6, v13
	v_ldexp_f32 v7, v7, v14
	v_exp_f32_e32 v8, v8
	v_cndmask_b32_e32 v1, 0x7f800000, v5, vcc_lo
	v_cmp_nlt_f32_e32 vcc_lo, 0x42ce8ed0, v2
	v_add_f32_e32 v1, 1.0, v1
	v_cndmask_b32_e32 v5, 0, v6, vcc_lo
	v_cmp_nlt_f32_e32 vcc_lo, 0x42ce8ed0, v3
	v_ldexp_f32 v8, v8, v15
	v_cndmask_b32_e32 v6, 0, v7, vcc_lo
	v_cmp_ngt_f32_e32 vcc_lo, 0xc2b17218, v2
	v_cndmask_b32_e32 v2, 0x7f800000, v5, vcc_lo
	v_cmp_ngt_f32_e32 vcc_lo, 0xc2b17218, v3
	v_div_scale_f32 v5, null, v1, v1, 1.0
	v_add_f32_e32 v2, 1.0, v2
	v_cndmask_b32_e32 v3, 0x7f800000, v6, vcc_lo
	v_cmp_nlt_f32_e32 vcc_lo, 0x42ce8ed0, v4
	v_rcp_f32_e32 v7, v5
	v_div_scale_f32 v20, s0, 1.0, v2, 1.0
	v_cndmask_b32_e32 v6, 0, v8, vcc_lo
	v_cmp_ngt_f32_e32 vcc_lo, 0xc2b17218, v4
	v_add_f32_e32 v3, 1.0, v3
	v_div_scale_f32 v8, null, v2, v2, 1.0
	v_cndmask_b32_e32 v4, 0x7f800000, v6, vcc_lo
	v_div_scale_f32 v13, null, v3, v3, 1.0
	v_rcp_f32_e32 v6, v8
	v_fma_f32 v15, -v5, v7, 1.0
	v_add_f32_e32 v4, 1.0, v4
	v_rcp_f32_e32 v14, v13
	v_fmac_f32_e32 v7, v15, v7
	v_div_scale_f32 v16, null, v4, v4, 1.0
	v_div_scale_f32 v15, vcc_lo, 1.0, v1, 1.0
	v_fma_f32 v17, -v8, v6, 1.0
	v_rcp_f32_e32 v18, v16
	v_fma_f32 v19, -v13, v14, 1.0
	v_fmac_f32_e32 v6, v17, v6
	v_mul_f32_e32 v17, v15, v7
	v_fmac_f32_e32 v14, v19, v14
	v_div_scale_f32 v19, s1, 1.0, v3, 1.0
	v_mul_f32_e32 v23, v20, v6
	v_fma_f32 v21, -v16, v18, 1.0
	v_fma_f32 v22, -v5, v17, v15
	v_mul_f32_e32 v24, v19, v14
	v_fmac_f32_e32 v18, v21, v18
	v_div_scale_f32 v21, s2, 1.0, v4, 1.0
	v_fmac_f32_e32 v17, v22, v7
	v_fma_f32 v22, -v8, v23, v20
	v_fma_f32 v25, -v13, v24, v19
	v_mul_f32_e32 v26, v21, v18
	v_fma_f32 v5, -v5, v17, v15
	v_fmac_f32_e32 v23, v22, v6
	v_fmac_f32_e32 v24, v25, v14
	v_fma_f32 v15, -v16, v26, v21
	v_div_fmas_f32 v5, v5, v7, v17
	v_fma_f32 v7, -v8, v23, v20
	v_fma_f32 v8, -v13, v24, v19
	v_fmac_f32_e32 v26, v15, v18
	s_mov_b32 vcc_lo, s0
	v_div_fixup_f32 v5, v5, v1, 1.0
	v_div_fmas_f32 v6, v7, v6, v23
	s_mov_b32 vcc_lo, s1
	v_fma_f32 v7, -v16, v26, v21
	v_div_fmas_f32 v8, v8, v14, v24
	s_mov_b32 vcc_lo, s2
	v_div_fixup_f32 v6, v6, v2, 1.0
	v_div_fmas_f32 v13, v7, v18, v26
	v_div_fixup_f32 v7, v8, v3, 1.0
	v_div_fixup_f32 v8, v13, v4, 1.0
.LBB7_6:
	s_waitcnt vmcnt(0)
	v_mov_b32_e32 v1, v5
	v_mov_b32_e32 v2, v6
	;; [unrolled: 1-line block ×4, first 2 shown]
.LBB7_7:
	s_lshr_b32 s0, s3, 8
	s_cmp_gt_i32 s17, 0
	s_mov_b32 s1, 0
	s_cbranch_scc1 .LBB7_9
; %bb.8:
	s_bitcmp1_b32 s0, 0
	s_cselect_b32 s3, -1, 0
	s_branch .LBB7_10
.LBB7_9:
	s_mov_b32 s1, -1
                                        ; implicit-def: $sgpr3
.LBB7_10:
	v_mov_b32_e32 v8, 0
	v_add_nc_u32_e32 v7, 32, v0
	v_add_nc_u32_e32 v6, 64, v0
	;; [unrolled: 1-line block ×3, first 2 shown]
	v_mbcnt_lo_u32_b32 v15, -1, 0
	v_mov_b32_e32 v13, v8
	v_mov_b32_e32 v14, v8
	;; [unrolled: 1-line block ×4, first 2 shown]
	s_andn2_b32 vcc_lo, exec_lo, s1
	s_cbranch_vccnz .LBB7_37
; %bb.11:
	s_clause 0x3
	global_load_dword v8, v12, s[14:15]
	global_load_dword v24, v12, s[14:15] offset:128
	global_load_dword v25, v12, s[14:15] offset:256
	;; [unrolled: 1-line block ×3, first 2 shown]
	s_waitcnt vmcnt(6)
	v_cmp_o_f32_e32 vcc_lo, v2, v2
	v_xor_b32_e32 v20, 4, v15
	v_xor_b32_e32 v21, 2, v15
	;; [unrolled: 1-line block ×3, first 2 shown]
	s_mov_b32 s1, 0xff7fffff
	v_cndmask_b32_e32 v18, 0xff7fffff, v2, vcc_lo
	s_waitcnt vmcnt(5)
	v_cmp_o_f32_e32 vcc_lo, v3, v3
	v_mov_b32_e32 v23, s1
	v_mov_b32_e32 v17, 0
	;; [unrolled: 1-line block ×4, first 2 shown]
	v_cndmask_b32_e32 v19, 0xff7fffff, v3, vcc_lo
	s_waitcnt vmcnt(4)
	v_cmp_o_f32_e32 vcc_lo, v4, v4
	v_mov_b32_e32 v13, 0
	s_bitcmp1_b32 s0, 0
	s_mov_b32 s5, 0
	s_cselect_b32 s3, -1, 0
	v_cndmask_b32_e32 v4, 0xff7fffff, v4, vcc_lo
	v_add_co_u32 v2, vcc_lo, s12, v10
	v_xor_b32_e32 v10, 16, v15
	v_add_co_ci_u32_e64 v3, null, s13, v11, vcc_lo
	v_xor_b32_e32 v11, 8, v15
	v_cmp_gt_i32_e32 vcc_lo, 32, v10
	v_cndmask_b32_e32 v10, v15, v10, vcc_lo
	v_cmp_gt_i32_e32 vcc_lo, 32, v11
	v_lshlrev_b32_e32 v10, 2, v10
	v_cndmask_b32_e32 v11, v15, v11, vcc_lo
	v_cmp_gt_i32_e32 vcc_lo, 32, v20
	v_lshlrev_b32_e32 v11, 2, v11
	;; [unrolled: 3-line block ×4, first 2 shown]
	v_cndmask_b32_e32 v22, v15, v22, vcc_lo
	v_cmp_u_f32_e32 vcc_lo, v1, v1
	v_lshlrev_b32_e32 v22, 2, v22
	v_cndmask_b32_e32 v1, v1, v23, vcc_lo
	s_waitcnt vmcnt(3)
	v_add_f32_e32 v23, v1, v8
	s_waitcnt vmcnt(2)
	v_add_f32_e32 v24, v18, v24
	;; [unrolled: 2-line block ×4, first 2 shown]
	v_mov_b32_e32 v8, v17
	s_branch .LBB7_13
.LBB7_12:                               ;   in Loop: Header=BB7_13 Depth=1
	s_or_b32 exec_lo, exec_lo, s0
	s_lshr_b32 s2, s5, 5
	s_and_b32 s6, s5, 31
	s_cmp_eq_u32 s2, 3
	s_cselect_b32 vcc_lo, -1, 0
	s_cmp_eq_u32 s2, 2
	s_cselect_b32 s0, -1, 0
	s_cmp_eq_u32 s2, 1
	s_waitcnt lgkmcnt(0)
	v_cndmask_b32_e64 v30, v13, v27, s0
	s_cselect_b32 s1, -1, 0
	s_cmp_eq_u32 s2, 0
	v_cndmask_b32_e64 v29, v14, v27, s1
	s_cselect_b32 s2, -1, 0
	s_add_i32 s5, s5, 1
	v_cndmask_b32_e64 v28, v16, v27, s2
	v_cmp_eq_u32_e64 s2, s6, v0
	v_cndmask_b32_e32 v27, v8, v27, vcc_lo
	v_add_co_u32 v2, vcc_lo, v2, 4
	v_add_co_ci_u32_e64 v3, null, 0, v3, vcc_lo
	v_cndmask_b32_e64 v16, v16, v28, s2
	v_cndmask_b32_e64 v14, v14, v29, s2
	;; [unrolled: 1-line block ×4, first 2 shown]
	s_cmp_eq_u32 s17, s5
	s_cbranch_scc1 .LBB7_37
.LBB7_13:                               ; =>This Inner Loop Header: Depth=1
	v_cmp_gt_f32_e32 vcc_lo, v24, v23
	s_mov_b32 s2, exec_lo
	v_cndmask_b32_e32 v28, v23, v24, vcc_lo
	v_cndmask_b32_e32 v27, v1, v18, vcc_lo
	v_cndmask_b32_e32 v30, v0, v7, vcc_lo
	v_cmp_gt_f32_e64 s0, v25, v28
	v_cndmask_b32_e64 v28, v28, v25, s0
	v_cndmask_b32_e64 v27, v27, v19, s0
	v_cmp_gt_f32_e64 s1, v26, v28
	v_cndmask_b32_e64 v29, v28, v26, s1
	v_cndmask_b32_e64 v28, v30, v6, s0
	;; [unrolled: 1-line block ×3, first 2 shown]
	ds_bpermute_b32 v30, v10, v29
	v_cndmask_b32_e64 v28, v28, v5, s1
	ds_bpermute_b32 v32, v10, v27
	ds_bpermute_b32 v31, v10, v28
	s_waitcnt lgkmcnt(2)
	v_cmp_lt_f32_e64 s1, v29, v30
	v_cmpx_nlt_f32_e32 v29, v30
	s_cbranch_execz .LBB7_15
; %bb.14:                               ;   in Loop: Header=BB7_13 Depth=1
	v_cmp_eq_f32_e32 vcc_lo, v29, v30
	s_waitcnt lgkmcnt(0)
	v_cmp_lt_i32_e64 s0, v31, v28
	s_andn2_b32 s1, s1, exec_lo
	s_and_b32 s0, vcc_lo, s0
	s_and_b32 s0, s0, exec_lo
	s_or_b32 s1, s1, s0
.LBB7_15:                               ;   in Loop: Header=BB7_13 Depth=1
	s_or_b32 exec_lo, exec_lo, s2
	s_and_saveexec_b32 s0, s1
	s_cbranch_execz .LBB7_17
; %bb.16:                               ;   in Loop: Header=BB7_13 Depth=1
	v_mov_b32_e32 v29, v30
	s_waitcnt lgkmcnt(1)
	v_mov_b32_e32 v27, v32
	s_waitcnt lgkmcnt(0)
	v_mov_b32_e32 v28, v31
.LBB7_17:                               ;   in Loop: Header=BB7_13 Depth=1
	s_or_b32 exec_lo, exec_lo, s0
	s_waitcnt lgkmcnt(1)
	ds_bpermute_b32 v32, v11, v29
	s_waitcnt lgkmcnt(1)
	ds_bpermute_b32 v31, v11, v27
	ds_bpermute_b32 v30, v11, v28
	s_mov_b32 s2, exec_lo
	s_waitcnt lgkmcnt(2)
	v_cmp_lt_f32_e64 s1, v29, v32
	v_cmpx_nlt_f32_e32 v29, v32
	s_cbranch_execz .LBB7_19
; %bb.18:                               ;   in Loop: Header=BB7_13 Depth=1
	v_cmp_eq_f32_e32 vcc_lo, v29, v32
	s_waitcnt lgkmcnt(0)
	v_cmp_lt_i32_e64 s0, v30, v28
	s_andn2_b32 s1, s1, exec_lo
	s_and_b32 s0, vcc_lo, s0
	s_and_b32 s0, s0, exec_lo
	s_or_b32 s1, s1, s0
.LBB7_19:                               ;   in Loop: Header=BB7_13 Depth=1
	s_or_b32 exec_lo, exec_lo, s2
	s_and_saveexec_b32 s0, s1
	s_cbranch_execz .LBB7_21
; %bb.20:                               ;   in Loop: Header=BB7_13 Depth=1
	v_mov_b32_e32 v29, v32
	s_waitcnt lgkmcnt(1)
	v_mov_b32_e32 v27, v31
	s_waitcnt lgkmcnt(0)
	v_mov_b32_e32 v28, v30
.LBB7_21:                               ;   in Loop: Header=BB7_13 Depth=1
	s_or_b32 exec_lo, exec_lo, s0
	ds_bpermute_b32 v32, v20, v29
	s_waitcnt lgkmcnt(2)
	ds_bpermute_b32 v31, v20, v27
	s_waitcnt lgkmcnt(2)
	ds_bpermute_b32 v30, v20, v28
	s_mov_b32 s2, exec_lo
	s_waitcnt lgkmcnt(2)
	v_cmp_lt_f32_e64 s1, v29, v32
	v_cmpx_nlt_f32_e32 v29, v32
	s_cbranch_execz .LBB7_23
; %bb.22:                               ;   in Loop: Header=BB7_13 Depth=1
	v_cmp_eq_f32_e32 vcc_lo, v29, v32
	s_waitcnt lgkmcnt(0)
	v_cmp_lt_i32_e64 s0, v30, v28
	s_andn2_b32 s1, s1, exec_lo
	s_and_b32 s0, vcc_lo, s0
	s_and_b32 s0, s0, exec_lo
	s_or_b32 s1, s1, s0
.LBB7_23:                               ;   in Loop: Header=BB7_13 Depth=1
	s_or_b32 exec_lo, exec_lo, s2
	s_and_saveexec_b32 s0, s1
	s_cbranch_execz .LBB7_25
; %bb.24:                               ;   in Loop: Header=BB7_13 Depth=1
	v_mov_b32_e32 v29, v32
	s_waitcnt lgkmcnt(1)
	v_mov_b32_e32 v27, v31
	s_waitcnt lgkmcnt(0)
	v_mov_b32_e32 v28, v30
.LBB7_25:                               ;   in Loop: Header=BB7_13 Depth=1
	s_or_b32 exec_lo, exec_lo, s0
	ds_bpermute_b32 v32, v21, v29
	s_waitcnt lgkmcnt(2)
	ds_bpermute_b32 v31, v21, v27
	s_waitcnt lgkmcnt(2)
	;; [unrolled: 30-line block ×3, first 2 shown]
	ds_bpermute_b32 v30, v22, v28
	s_mov_b32 s2, exec_lo
	s_waitcnt lgkmcnt(2)
	v_cmp_lt_f32_e64 s1, v29, v32
	v_cmpx_nlt_f32_e32 v29, v32
	s_cbranch_execz .LBB7_31
; %bb.30:                               ;   in Loop: Header=BB7_13 Depth=1
	v_cmp_eq_f32_e32 vcc_lo, v29, v32
	s_waitcnt lgkmcnt(0)
	v_cmp_lt_i32_e64 s0, v30, v28
	s_andn2_b32 s1, s1, exec_lo
	s_and_b32 s0, vcc_lo, s0
	s_and_b32 s0, s0, exec_lo
	s_or_b32 s1, s1, s0
.LBB7_31:                               ;   in Loop: Header=BB7_13 Depth=1
	s_or_b32 exec_lo, exec_lo, s2
	s_and_saveexec_b32 s0, s1
	s_cbranch_execz .LBB7_33
; %bb.32:                               ;   in Loop: Header=BB7_13 Depth=1
	s_waitcnt lgkmcnt(1)
	v_mov_b32_e32 v27, v31
	s_waitcnt lgkmcnt(0)
	v_mov_b32_e32 v28, v30
.LBB7_33:                               ;   in Loop: Header=BB7_13 Depth=1
	s_or_b32 exec_lo, exec_lo, s0
	v_and_b32_e32 v29, 31, v28
	v_cmp_eq_u32_e32 vcc_lo, v29, v0
	s_and_saveexec_b32 s1, vcc_lo
	s_cbranch_execz .LBB7_35
; %bb.34:                               ;   in Loop: Header=BB7_13 Depth=1
	v_ashrrev_i32_e32 v29, 31, v28
	v_lshrrev_b32_e32 v29, 27, v29
	v_add_nc_u32_e32 v29, v28, v29
	v_ashrrev_i32_e32 v29, 5, v29
	v_cmp_ne_u32_e64 s0, 3, v29
	v_cndmask_b32_e64 v26, 0xff800000, v26, s0
	v_cmp_ne_u32_e64 s0, 2, v29
	v_cndmask_b32_e64 v25, 0xff800000, v25, s0
	;; [unrolled: 2-line block ×4, first 2 shown]
.LBB7_35:                               ;   in Loop: Header=BB7_13 Depth=1
	s_or_b32 exec_lo, exec_lo, s1
	s_and_saveexec_b32 s0, vcc_lo
	s_cbranch_execz .LBB7_12
; %bb.36:                               ;   in Loop: Header=BB7_13 Depth=1
	v_add_f32_e32 v29, v17, v27
	global_store_dword v[2:3], v28, off
	v_cndmask_b32_e64 v17, v17, v29, s3
	s_branch .LBB7_12
.LBB7_37:
	s_and_b32 vcc_lo, exec_lo, s3
	s_cbranch_vccz .LBB7_39
; %bb.38:
	s_waitcnt vmcnt(3)
	v_xor_b32_e32 v1, 16, v15
	s_waitcnt vmcnt(2)
	v_xor_b32_e32 v2, 8, v15
	;; [unrolled: 2-line block ×3, first 2 shown]
	v_cmp_gt_i32_e32 vcc_lo, 32, v1
	v_cndmask_b32_e32 v1, v15, v1, vcc_lo
	v_cmp_gt_i32_e32 vcc_lo, 32, v2
	v_lshlrev_b32_e32 v1, 2, v1
	v_cndmask_b32_e32 v2, v15, v2, vcc_lo
	v_cmp_gt_i32_e32 vcc_lo, 32, v3
	ds_bpermute_b32 v1, v1, v17
	v_lshlrev_b32_e32 v2, 2, v2
	v_cndmask_b32_e32 v3, v15, v3, vcc_lo
	v_lshlrev_b32_e32 v3, 2, v3
	s_waitcnt lgkmcnt(0)
	v_add_f32_e32 v1, v17, v1
	ds_bpermute_b32 v2, v2, v1
	s_waitcnt lgkmcnt(0)
	v_add_f32_e32 v1, v1, v2
	ds_bpermute_b32 v2, v3, v1
	v_xor_b32_e32 v3, 2, v15
	v_cmp_gt_i32_e32 vcc_lo, 32, v3
	v_cndmask_b32_e32 v3, v15, v3, vcc_lo
	v_lshlrev_b32_e32 v3, 2, v3
	s_waitcnt lgkmcnt(0)
	v_add_f32_e32 v1, v1, v2
	ds_bpermute_b32 v2, v3, v1
	v_xor_b32_e32 v3, 1, v15
	v_cmp_gt_i32_e32 vcc_lo, 32, v3
	v_cndmask_b32_e32 v3, v15, v3, vcc_lo
	v_lshlrev_b32_e32 v3, 2, v3
	s_waitcnt lgkmcnt(0)
	v_add_f32_e32 v1, v1, v2
	ds_bpermute_b32 v2, v3, v1
	v_max_f32_e64 v3, s18, s18
	s_waitcnt lgkmcnt(0)
	v_add_f32_e32 v1, v1, v2
	v_max_f32_e32 v1, v1, v3
	v_div_scale_f32 v2, null, v1, v1, 1.0
	v_div_scale_f32 v10, vcc_lo, 1.0, v1, 1.0
	v_rcp_f32_e32 v3, v2
	s_waitcnt vmcnt(0)
	v_fma_f32 v4, -v2, v3, 1.0
	v_fmac_f32_e32 v3, v4, v3
	v_mul_f32_e32 v4, v10, v3
	v_fma_f32 v11, -v2, v4, v10
	v_fmac_f32_e32 v4, v11, v3
	v_fma_f32 v2, -v2, v4, v10
	v_div_fmas_f32 v2, v2, v3, v4
	v_div_fixup_f32 v1, v2, v1, 1.0
	v_mul_f32_e32 v16, v1, v16
	v_mul_f32_e32 v14, v1, v14
	;; [unrolled: 1-line block ×4, first 2 shown]
.LBB7_39:
	v_cmp_gt_i32_e64 s0, s17, v7
	v_cmp_gt_i32_e64 s1, s17, v6
	;; [unrolled: 1-line block ×4, first 2 shown]
	s_andn2_b32 vcc_lo, exec_lo, s4
	s_cbranch_vccnz .LBB7_41
; %bb.40:
	s_waitcnt vmcnt(3)
	v_max_f32_e32 v1, v16, v16
	s_waitcnt vmcnt(2)
	v_max_f32_e32 v2, v14, v14
	;; [unrolled: 2-line block ×4, first 2 shown]
	v_xor_b32_e32 v10, 4, v15
	v_max_f32_e32 v1, 0xff800000, v1
	v_xor_b32_e32 v11, 2, v15
	v_xor_b32_e32 v17, 1, v15
	s_mov_b32 s4, 0
	v_cndmask_b32_e64 v1, 0xff800000, v1, s3
	v_max_f32_e32 v2, v1, v2
	v_cndmask_b32_e64 v1, v1, v2, s0
	v_max_f32_e32 v2, v1, v3
	v_xor_b32_e32 v3, 16, v15
	v_cndmask_b32_e64 v1, v1, v2, s1
	v_cmp_gt_i32_e32 vcc_lo, 32, v3
	v_cndmask_b32_e32 v2, v15, v3, vcc_lo
	v_max_f32_e32 v3, v1, v4
	v_xor_b32_e32 v4, 8, v15
	v_lshlrev_b32_e32 v2, 2, v2
	v_cndmask_b32_e64 v1, v1, v3, s2
	v_cmp_gt_i32_e32 vcc_lo, 32, v4
	ds_bpermute_b32 v3, v2, v1
	v_cndmask_b32_e32 v4, v15, v4, vcc_lo
	v_cmp_gt_i32_e32 vcc_lo, 32, v10
	v_lshlrev_b32_e32 v4, 2, v4
	v_cndmask_b32_e32 v10, v15, v10, vcc_lo
	v_cmp_gt_i32_e32 vcc_lo, 32, v11
	v_lshlrev_b32_e32 v10, 2, v10
	v_cndmask_b32_e32 v11, v15, v11, vcc_lo
	v_cmp_gt_i32_e32 vcc_lo, 32, v17
	v_lshlrev_b32_e32 v11, 2, v11
	v_cndmask_b32_e32 v15, v15, v17, vcc_lo
	s_waitcnt lgkmcnt(0)
	v_max_f32_e32 v3, v3, v3
	v_lshlrev_b32_e32 v15, 2, v15
	v_max_f32_e32 v1, v1, v3
	ds_bpermute_b32 v3, v4, v1
	s_waitcnt lgkmcnt(0)
	v_max_f32_e32 v3, v3, v3
	v_max_f32_e32 v1, v1, v3
	ds_bpermute_b32 v3, v10, v1
	s_waitcnt lgkmcnt(0)
	v_max_f32_e32 v3, v3, v3
	v_max_f32_e32 v1, v1, v3
	ds_bpermute_b32 v3, v11, v1
	s_waitcnt lgkmcnt(0)
	v_max_f32_e32 v3, v3, v3
	v_max_f32_e32 v1, v1, v3
	ds_bpermute_b32 v3, v15, v1
	s_waitcnt lgkmcnt(0)
	v_max_f32_e32 v3, v3, v3
	v_max_f32_e32 v1, v1, v3
	v_sub_f32_e32 v3, v16, v1
	v_sub_f32_e32 v14, v14, v1
	v_sub_f32_e32 v13, v13, v1
	v_sub_f32_e32 v1, v8, v1
	v_mul_f32_e32 v16, 0x3fb8aa3b, v3
	v_mul_f32_e32 v17, 0x3fb8aa3b, v14
	;; [unrolled: 1-line block ×4, first 2 shown]
	v_cmp_ngt_f32_e32 vcc_lo, 0xc2ce8ed0, v3
	v_fma_f32 v18, 0x3fb8aa3b, v3, -v16
	v_rndne_f32_e32 v19, v16
	v_fma_f32 v8, 0x3fb8aa3b, v14, -v17
	v_rndne_f32_e32 v20, v17
	v_rndne_f32_e32 v23, v21
	v_fmac_f32_e32 v18, 0x32a5705f, v3
	v_sub_f32_e32 v16, v16, v19
	v_fmac_f32_e32 v8, 0x32a5705f, v14
	v_sub_f32_e32 v17, v17, v20
	v_cvt_i32_f32_e32 v19, v19
	v_cvt_i32_f32_e32 v20, v20
	v_add_f32_e32 v16, v16, v18
	v_fma_f32 v18, 0x3fb8aa3b, v13, -v21
	v_add_f32_e32 v8, v17, v8
	v_sub_f32_e32 v21, v21, v23
	v_fma_f32 v17, 0x3fb8aa3b, v1, -v22
	v_exp_f32_e32 v16, v16
	v_fmac_f32_e32 v18, 0x32a5705f, v13
	v_exp_f32_e32 v8, v8
	v_rndne_f32_e32 v24, v22
	v_fmac_f32_e32 v17, 0x32a5705f, v1
	v_add_f32_e32 v18, v21, v18
	v_cvt_i32_f32_e32 v21, v23
	v_ldexp_f32 v16, v16, v19
	v_sub_f32_e32 v19, v22, v24
	v_ldexp_f32 v8, v8, v20
	v_exp_f32_e32 v18, v18
	v_cndmask_b32_e32 v16, 0, v16, vcc_lo
	v_cmp_ngt_f32_e32 vcc_lo, 0xc2ce8ed0, v14
	v_add_f32_e32 v17, v19, v17
	v_cndmask_b32_e32 v8, 0, v8, vcc_lo
	v_cmp_nlt_f32_e32 vcc_lo, 0x42b17218, v3
	v_cndmask_b32_e32 v3, 0x7f800000, v16, vcc_lo
	v_cmp_nlt_f32_e32 vcc_lo, 0x42b17218, v14
	v_exp_f32_e32 v16, v17
	v_ldexp_f32 v17, v18, v21
	v_cvt_i32_f32_e32 v14, v24
	v_cndmask_b32_e64 v3, 0, v3, s3
	v_cndmask_b32_e32 v8, 0x7f800000, v8, vcc_lo
	v_cmp_ngt_f32_e32 vcc_lo, 0xc2ce8ed0, v13
	v_add_f32_e32 v18, v8, v3
	v_cndmask_b32_e32 v17, 0, v17, vcc_lo
	v_cmp_nlt_f32_e32 vcc_lo, 0x42b17218, v13
	v_ldexp_f32 v14, v16, v14
	v_cndmask_b32_e64 v13, v3, v18, s0
	v_cndmask_b32_e32 v16, 0x7f800000, v17, vcc_lo
	v_cmp_ngt_f32_e32 vcc_lo, 0xc2ce8ed0, v1
	v_add_f32_e32 v17, v13, v16
	v_cndmask_b32_e32 v14, 0, v14, vcc_lo
	v_cmp_nlt_f32_e32 vcc_lo, 0x42b17218, v1
	v_cndmask_b32_e64 v13, v13, v17, s1
	v_cndmask_b32_e32 v1, 0x7f800000, v14, vcc_lo
	v_add_f32_e32 v14, v13, v1
	v_cndmask_b32_e64 v13, v13, v14, s2
	ds_bpermute_b32 v2, v2, v13
	s_waitcnt lgkmcnt(0)
	v_add_f32_e32 v2, v13, v2
	ds_bpermute_b32 v4, v4, v2
	s_waitcnt lgkmcnt(0)
	v_add_f32_e32 v2, v2, v4
	;; [unrolled: 3-line block ×5, first 2 shown]
	v_div_scale_f32 v4, null, v2, v2, 1.0
	v_div_scale_f32 v13, vcc_lo, 1.0, v2, 1.0
	v_rcp_f32_e32 v10, v4
	v_fma_f32 v11, -v4, v10, 1.0
	v_fmac_f32_e32 v10, v11, v10
	v_mul_f32_e32 v11, v13, v10
	v_fma_f32 v14, -v4, v11, v13
	v_fmac_f32_e32 v11, v14, v10
	v_fma_f32 v4, -v4, v11, v13
	v_mov_b32_e32 v13, s4
	v_div_fmas_f32 v4, v4, v10, v11
	v_mov_b32_e32 v10, s4
	v_mov_b32_e32 v11, s4
	v_cndmask_b32_e64 v14, v13, v8, s0
	v_cndmask_b32_e64 v8, 0, v8, s0
	v_div_fixup_f32 v2, v4, v2, 1.0
	v_cndmask_b32_e64 v13, v10, v16, s1
	v_cndmask_b32_e64 v4, 0, v16, s1
	v_cndmask_b32_e64 v10, 0, v1, s2
	v_cndmask_b32_e64 v1, v11, v1, s2
	v_mul_f32_e32 v11, v3, v2
	v_mul_f32_e32 v8, v8, v2
	;; [unrolled: 1-line block ×4, first 2 shown]
	v_cndmask_b32_e64 v16, v3, v11, s3
	v_cndmask_b32_e64 v14, v14, v8, s0
	;; [unrolled: 1-line block ×4, first 2 shown]
.LBB7_41:
	s_waitcnt vmcnt(3)
	v_mul_lo_u32 v1, v9, s17
	s_mov_b32 s0, exec_lo
	s_waitcnt vmcnt(2)
	v_ashrrev_i32_e32 v2, 31, v1
	v_lshlrev_b64 v[1:2], 2, v[1:2]
	v_add_co_u32 v1, vcc_lo, s10, v1
	v_add_co_ci_u32_e64 v2, null, s11, v2, vcc_lo
	v_cmpx_gt_i32_e64 s17, v0
	s_cbranch_execnz .LBB7_47
; %bb.42:
	s_or_b32 exec_lo, exec_lo, s0
	s_mov_b32 s0, exec_lo
	v_cmpx_gt_i32_e64 s17, v7
	s_cbranch_execnz .LBB7_48
.LBB7_43:
	s_or_b32 exec_lo, exec_lo, s0
	s_mov_b32 s0, exec_lo
	v_cmpx_gt_i32_e64 s17, v6
	s_cbranch_execnz .LBB7_49
.LBB7_44:
	s_or_b32 exec_lo, exec_lo, s0
	v_cmp_gt_i32_e32 vcc_lo, s17, v5
	s_and_b32 exec_lo, exec_lo, vcc_lo
	s_cbranch_execz .LBB7_46
.LBB7_45:
	v_add_co_u32 v0, vcc_lo, v1, v12
	v_add_co_ci_u32_e64 v1, null, 0, v2, vcc_lo
	v_mul_f32_e32 v2, s19, v8
	global_store_dword v[0:1], v2, off offset:384
.LBB7_46:
	s_endpgm
.LBB7_47:
	s_waitcnt vmcnt(1)
	v_add_co_u32 v3, vcc_lo, v1, v12
	s_waitcnt vmcnt(0)
	v_add_co_ci_u32_e64 v4, null, 0, v2, vcc_lo
	v_mul_f32_e32 v0, s19, v16
	global_store_dword v[3:4], v0, off
	s_or_b32 exec_lo, exec_lo, s0
	s_mov_b32 s0, exec_lo
	v_cmpx_gt_i32_e64 s17, v7
	s_cbranch_execz .LBB7_43
.LBB7_48:
	s_waitcnt vmcnt(1)
	v_add_co_u32 v3, vcc_lo, v1, v12
	s_waitcnt vmcnt(0)
	v_add_co_ci_u32_e64 v4, null, 0, v2, vcc_lo
	v_mul_f32_e32 v0, s19, v14
	global_store_dword v[3:4], v0, off offset:128
	s_or_b32 exec_lo, exec_lo, s0
	s_mov_b32 s0, exec_lo
	v_cmpx_gt_i32_e64 s17, v6
	s_cbranch_execz .LBB7_44
.LBB7_49:
	s_waitcnt vmcnt(1)
	v_add_co_u32 v3, vcc_lo, v1, v12
	s_waitcnt vmcnt(0)
	v_add_co_ci_u32_e64 v4, null, 0, v2, vcc_lo
	v_mul_f32_e32 v0, s19, v13
	global_store_dword v[3:4], v0, off offset:256
	s_or_b32 exec_lo, exec_lo, s0
	v_cmp_gt_i32_e32 vcc_lo, s17, v5
	s_and_b32 exec_lo, exec_lo, vcc_lo
	s_cbranch_execnz .LBB7_45
	s_branch .LBB7_46
	.section	.rodata,"a",@progbits
	.p2align	6, 0x0
	.amdhsa_kernel _Z13topk_moe_cudaILi128ELb1EEvPKfPfPiS2_iiff15topk_moe_config
		.amdhsa_group_segment_fixed_size 0
		.amdhsa_private_segment_fixed_size 0
		.amdhsa_kernarg_size 312
		.amdhsa_user_sgpr_count 6
		.amdhsa_user_sgpr_private_segment_buffer 1
		.amdhsa_user_sgpr_dispatch_ptr 0
		.amdhsa_user_sgpr_queue_ptr 0
		.amdhsa_user_sgpr_kernarg_segment_ptr 1
		.amdhsa_user_sgpr_dispatch_id 0
		.amdhsa_user_sgpr_flat_scratch_init 0
		.amdhsa_user_sgpr_private_segment_size 0
		.amdhsa_wavefront_size32 1
		.amdhsa_uses_dynamic_stack 0
		.amdhsa_system_sgpr_private_segment_wavefront_offset 0
		.amdhsa_system_sgpr_workgroup_id_x 1
		.amdhsa_system_sgpr_workgroup_id_y 0
		.amdhsa_system_sgpr_workgroup_id_z 0
		.amdhsa_system_sgpr_workgroup_info 0
		.amdhsa_system_vgpr_workitem_id 1
		.amdhsa_next_free_vgpr 33
		.amdhsa_next_free_sgpr 20
		.amdhsa_reserve_vcc 1
		.amdhsa_reserve_flat_scratch 0
		.amdhsa_float_round_mode_32 0
		.amdhsa_float_round_mode_16_64 0
		.amdhsa_float_denorm_mode_32 3
		.amdhsa_float_denorm_mode_16_64 3
		.amdhsa_dx10_clamp 1
		.amdhsa_ieee_mode 1
		.amdhsa_fp16_overflow 0
		.amdhsa_workgroup_processor_mode 1
		.amdhsa_memory_ordered 1
		.amdhsa_forward_progress 1
		.amdhsa_shared_vgpr_count 0
		.amdhsa_exception_fp_ieee_invalid_op 0
		.amdhsa_exception_fp_denorm_src 0
		.amdhsa_exception_fp_ieee_div_zero 0
		.amdhsa_exception_fp_ieee_overflow 0
		.amdhsa_exception_fp_ieee_underflow 0
		.amdhsa_exception_fp_ieee_inexact 0
		.amdhsa_exception_int_div_zero 0
	.end_amdhsa_kernel
	.section	.text._Z13topk_moe_cudaILi128ELb1EEvPKfPfPiS2_iiff15topk_moe_config,"axG",@progbits,_Z13topk_moe_cudaILi128ELb1EEvPKfPfPiS2_iiff15topk_moe_config,comdat
.Lfunc_end7:
	.size	_Z13topk_moe_cudaILi128ELb1EEvPKfPfPiS2_iiff15topk_moe_config, .Lfunc_end7-_Z13topk_moe_cudaILi128ELb1EEvPKfPfPiS2_iiff15topk_moe_config
                                        ; -- End function
	.set _Z13topk_moe_cudaILi128ELb1EEvPKfPfPiS2_iiff15topk_moe_config.num_vgpr, 33
	.set _Z13topk_moe_cudaILi128ELb1EEvPKfPfPiS2_iiff15topk_moe_config.num_agpr, 0
	.set _Z13topk_moe_cudaILi128ELb1EEvPKfPfPiS2_iiff15topk_moe_config.numbered_sgpr, 20
	.set _Z13topk_moe_cudaILi128ELb1EEvPKfPfPiS2_iiff15topk_moe_config.num_named_barrier, 0
	.set _Z13topk_moe_cudaILi128ELb1EEvPKfPfPiS2_iiff15topk_moe_config.private_seg_size, 0
	.set _Z13topk_moe_cudaILi128ELb1EEvPKfPfPiS2_iiff15topk_moe_config.uses_vcc, 1
	.set _Z13topk_moe_cudaILi128ELb1EEvPKfPfPiS2_iiff15topk_moe_config.uses_flat_scratch, 0
	.set _Z13topk_moe_cudaILi128ELb1EEvPKfPfPiS2_iiff15topk_moe_config.has_dyn_sized_stack, 0
	.set _Z13topk_moe_cudaILi128ELb1EEvPKfPfPiS2_iiff15topk_moe_config.has_recursion, 0
	.set _Z13topk_moe_cudaILi128ELb1EEvPKfPfPiS2_iiff15topk_moe_config.has_indirect_call, 0
	.section	.AMDGPU.csdata,"",@progbits
; Kernel info:
; codeLenInByte = 4568
; TotalNumSgprs: 22
; NumVgprs: 33
; ScratchSize: 0
; MemoryBound: 0
; FloatMode: 240
; IeeeMode: 1
; LDSByteSize: 0 bytes/workgroup (compile time only)
; SGPRBlocks: 0
; VGPRBlocks: 4
; NumSGPRsForWavesPerEU: 22
; NumVGPRsForWavesPerEU: 33
; Occupancy: 16
; WaveLimiterHint : 1
; COMPUTE_PGM_RSRC2:SCRATCH_EN: 0
; COMPUTE_PGM_RSRC2:USER_SGPR: 6
; COMPUTE_PGM_RSRC2:TRAP_HANDLER: 0
; COMPUTE_PGM_RSRC2:TGID_X_EN: 1
; COMPUTE_PGM_RSRC2:TGID_Y_EN: 0
; COMPUTE_PGM_RSRC2:TGID_Z_EN: 0
; COMPUTE_PGM_RSRC2:TIDIG_COMP_CNT: 1
	.section	.text._Z13topk_moe_cudaILi256ELb1EEvPKfPfPiS2_iiff15topk_moe_config,"axG",@progbits,_Z13topk_moe_cudaILi256ELb1EEvPKfPfPiS2_iiff15topk_moe_config,comdat
	.protected	_Z13topk_moe_cudaILi256ELb1EEvPKfPfPiS2_iiff15topk_moe_config ; -- Begin function _Z13topk_moe_cudaILi256ELb1EEvPKfPfPiS2_iiff15topk_moe_config
	.globl	_Z13topk_moe_cudaILi256ELb1EEvPKfPfPiS2_iiff15topk_moe_config
	.p2align	8
	.type	_Z13topk_moe_cudaILi256ELb1EEvPKfPfPiS2_iiff15topk_moe_config,@function
_Z13topk_moe_cudaILi256ELb1EEvPKfPfPiS2_iiff15topk_moe_config: ; @_Z13topk_moe_cudaILi256ELb1EEvPKfPfPiS2_iiff15topk_moe_config
; %bb.0:
	s_clause 0x1
	s_load_dword s0, s[4:5], 0x44
	s_load_dwordx4 s[16:19], s[4:5], 0x20
	s_waitcnt lgkmcnt(0)
	s_lshr_b32 s0, s0, 16
	v_mad_u64_u32 v[17:18], null, s6, s0, v[1:2]
	s_mov_b32 s0, exec_lo
	v_cmpx_gt_i32_e64 s16, v17
	s_cbranch_execz .LBB8_50
; %bb.1:
	s_load_dwordx8 s[8:15], s[4:5], 0x0
	v_lshlrev_b32_e32 v1, 8, v17
	v_lshlrev_b32_e32 v20, 2, v0
	s_load_dword s0, s[4:5], 0x30
	v_ashrrev_i32_e32 v2, 31, v1
	v_lshlrev_b64 v[18:19], 2, v[1:2]
	v_mov_b32_e32 v1, 0
	global_load_ushort v1, v1, s[4:5] offset:48
	s_waitcnt lgkmcnt(0)
	v_add_co_u32 v2, vcc_lo, s8, v18
	v_add_co_ci_u32_e64 v3, null, s9, v19, vcc_lo
	v_add_co_u32 v2, vcc_lo, v2, v20
	v_add_co_ci_u32_e64 v3, null, 0, v3, vcc_lo
	s_clause 0x7
	global_load_dword v9, v[2:3], off
	global_load_dword v10, v[2:3], off offset:128
	global_load_dword v11, v[2:3], off offset:256
	;; [unrolled: 1-line block ×7, first 2 shown]
	s_waitcnt vmcnt(8)
	v_readfirstlane_b32 s1, v1
	s_and_b32 s4, 0xffff, s1
	s_bitcmp1_b32 s0, 16
	s_cselect_b32 s8, -1, 0
	s_and_b32 vcc_lo, exec_lo, s8
	s_cbranch_vccnz .LBB8_7
; %bb.2:
	v_and_b32_e32 v1, 1, v1
	s_mov_b32 s0, 0
	v_cmp_eq_u32_e32 vcc_lo, 0, v1
	s_cbranch_vccz .LBB8_4
; %bb.3:
	v_mbcnt_lo_u32_b32 v2, -1, 0
	s_waitcnt vmcnt(6)
	v_max3_f32 v1, v9, 0xff800000, v10
	v_xor_b32_e32 v3, 16, v2
	s_waitcnt vmcnt(4)
	v_max3_f32 v1, v1, v11, v12
	v_xor_b32_e32 v5, 8, v2
	v_xor_b32_e32 v6, 4, v2
	;; [unrolled: 1-line block ×3, first 2 shown]
	v_cmp_gt_i32_e32 vcc_lo, 32, v3
	s_waitcnt vmcnt(2)
	v_max3_f32 v1, v1, v13, v14
	v_xor_b32_e32 v8, 1, v2
	v_cndmask_b32_e32 v3, v2, v3, vcc_lo
	s_waitcnt vmcnt(0)
	v_max3_f32 v1, v1, v15, v16
	v_cmp_gt_i32_e32 vcc_lo, 32, v5
	v_lshlrev_b32_e32 v3, 2, v3
	v_cndmask_b32_e32 v5, v2, v5, vcc_lo
	v_cmp_gt_i32_e32 vcc_lo, 32, v6
	ds_bpermute_b32 v4, v3, v1
	v_lshlrev_b32_e32 v5, 2, v5
	v_cndmask_b32_e32 v6, v2, v6, vcc_lo
	v_cmp_gt_i32_e32 vcc_lo, 32, v7
	v_lshlrev_b32_e32 v6, 2, v6
	v_cndmask_b32_e32 v7, v2, v7, vcc_lo
	v_cmp_gt_i32_e32 vcc_lo, 32, v8
	v_lshlrev_b32_e32 v7, 2, v7
	v_cndmask_b32_e32 v2, v2, v8, vcc_lo
	v_lshlrev_b32_e32 v2, 2, v2
	s_waitcnt lgkmcnt(0)
	v_max_f32_e32 v4, v4, v4
	v_max_f32_e32 v1, v1, v4
	ds_bpermute_b32 v4, v5, v1
	s_waitcnt lgkmcnt(0)
	v_max_f32_e32 v4, v4, v4
	v_max_f32_e32 v1, v1, v4
	ds_bpermute_b32 v4, v6, v1
	;; [unrolled: 4-line block ×4, first 2 shown]
	s_waitcnt lgkmcnt(0)
	v_max_f32_e32 v4, v4, v4
	v_max_f32_e32 v1, v1, v4
	v_sub_f32_e32 v4, v9, v1
	v_sub_f32_e32 v8, v10, v1
	;; [unrolled: 1-line block ×5, first 2 shown]
	v_mul_f32_e32 v26, 0x3fb8aa3b, v4
	v_mul_f32_e32 v27, 0x3fb8aa3b, v8
	;; [unrolled: 1-line block ×4, first 2 shown]
	v_cmp_ngt_f32_e32 vcc_lo, 0xc2ce8ed0, v4
	v_fma_f32 v34, 0x3fb8aa3b, v4, -v26
	v_rndne_f32_e32 v35, v26
	v_fma_f32 v36, 0x3fb8aa3b, v8, -v27
	v_rndne_f32_e32 v37, v27
	v_fma_f32 v38, 0x3fb8aa3b, v21, -v28
	v_fmac_f32_e32 v34, 0x32a5705f, v4
	v_sub_f32_e32 v26, v26, v35
	v_rndne_f32_e32 v39, v28
	v_fmac_f32_e32 v36, 0x32a5705f, v8
	v_sub_f32_e32 v27, v27, v37
	v_fmac_f32_e32 v38, 0x32a5705f, v21
	v_add_f32_e32 v26, v26, v34
	v_sub_f32_e32 v28, v28, v39
	v_cvt_i32_f32_e32 v35, v35
	v_add_f32_e32 v27, v27, v36
	v_fma_f32 v40, 0x3fb8aa3b, v22, -v29
	v_exp_f32_e32 v26, v26
	v_add_f32_e32 v28, v28, v38
	v_rndne_f32_e32 v41, v29
	v_exp_f32_e32 v27, v27
	v_cvt_i32_f32_e32 v37, v37
	v_mul_f32_e32 v30, 0x3fb8aa3b, v23
	v_exp_f32_e32 v28, v28
	v_cvt_i32_f32_e32 v39, v39
	v_fmac_f32_e32 v40, 0x32a5705f, v22
	v_sub_f32_e32 v29, v29, v41
	v_ldexp_f32 v26, v26, v35
	v_sub_f32_e32 v24, v14, v1
	v_fma_f32 v42, 0x3fb8aa3b, v23, -v30
	v_ldexp_f32 v27, v27, v37
	v_rndne_f32_e32 v43, v30
	v_cndmask_b32_e32 v26, 0, v26, vcc_lo
	v_cmp_ngt_f32_e32 vcc_lo, 0xc2ce8ed0, v8
	v_add_f32_e32 v29, v29, v40
	v_ldexp_f32 v28, v28, v39
	v_mul_f32_e32 v31, 0x3fb8aa3b, v24
	v_fmac_f32_e32 v42, 0x32a5705f, v23
	v_cndmask_b32_e32 v27, 0, v27, vcc_lo
	v_cmp_ngt_f32_e32 vcc_lo, 0xc2ce8ed0, v21
	v_sub_f32_e32 v30, v30, v43
	v_exp_f32_e32 v29, v29
	v_sub_f32_e32 v25, v15, v1
	v_fma_f32 v44, 0x3fb8aa3b, v24, -v31
	v_cndmask_b32_e32 v28, 0, v28, vcc_lo
	v_cmp_nlt_f32_e32 vcc_lo, 0x42b17218, v4
	v_rndne_f32_e32 v45, v31
	v_cvt_i32_f32_e32 v41, v41
	v_add_f32_e32 v30, v30, v42
	v_mul_f32_e32 v32, 0x3fb8aa3b, v25
	v_cndmask_b32_e32 v4, 0x7f800000, v26, vcc_lo
	v_cmp_nlt_f32_e32 vcc_lo, 0x42b17218, v8
	v_fmac_f32_e32 v44, 0x32a5705f, v24
	v_sub_f32_e32 v31, v31, v45
	v_exp_f32_e32 v30, v30
	v_ldexp_f32 v29, v29, v41
	v_cndmask_b32_e32 v8, 0x7f800000, v27, vcc_lo
	v_cmp_ngt_f32_e32 vcc_lo, 0xc2ce8ed0, v22
	v_sub_f32_e32 v1, v16, v1
	v_fma_f32 v46, 0x3fb8aa3b, v25, -v32
	v_rndne_f32_e32 v47, v32
	v_cvt_i32_f32_e32 v43, v43
	v_add_f32_e32 v31, v31, v44
	v_cndmask_b32_e32 v26, 0, v29, vcc_lo
	v_cmp_nlt_f32_e32 vcc_lo, 0x42b17218, v21
	v_mul_f32_e32 v33, 0x3fb8aa3b, v1
	v_fmac_f32_e32 v46, 0x32a5705f, v25
	v_sub_f32_e32 v32, v32, v47
	v_exp_f32_e32 v31, v31
	v_ldexp_f32 v30, v30, v43
	v_cndmask_b32_e32 v21, 0x7f800000, v28, vcc_lo
	v_cmp_ngt_f32_e32 vcc_lo, 0xc2ce8ed0, v23
	v_fma_f32 v48, 0x3fb8aa3b, v1, -v33
	v_rndne_f32_e32 v49, v33
	v_cvt_i32_f32_e32 v45, v45
	v_add_f32_e32 v32, v32, v46
	v_cndmask_b32_e32 v28, 0, v30, vcc_lo
	v_cmp_nlt_f32_e32 vcc_lo, 0x42b17218, v22
	v_fmac_f32_e32 v48, 0x32a5705f, v1
	v_sub_f32_e32 v33, v33, v49
	v_exp_f32_e32 v32, v32
	v_ldexp_f32 v31, v31, v45
	v_add_f32_e32 v27, v4, v8
	v_cndmask_b32_e32 v22, 0x7f800000, v26, vcc_lo
	v_cmp_ngt_f32_e32 vcc_lo, 0xc2ce8ed0, v24
	v_add_f32_e32 v33, v33, v48
	v_cvt_i32_f32_e32 v34, v47
	v_add_f32_e32 v26, v21, v27
	v_cvt_i32_f32_e32 v36, v49
	v_cndmask_b32_e32 v27, 0, v31, vcc_lo
	v_cmp_nlt_f32_e32 vcc_lo, 0x42b17218, v23
	v_exp_f32_e32 v33, v33
	v_ldexp_f32 v32, v32, v34
	v_add_f32_e32 v26, v22, v26
	v_cndmask_b32_e32 v23, 0x7f800000, v28, vcc_lo
	v_cmp_ngt_f32_e32 vcc_lo, 0xc2ce8ed0, v25
	v_add_f32_e32 v26, v23, v26
	v_cndmask_b32_e32 v28, 0, v32, vcc_lo
	v_cmp_nlt_f32_e32 vcc_lo, 0x42b17218, v24
	v_ldexp_f32 v33, v33, v36
	v_cndmask_b32_e32 v24, 0x7f800000, v27, vcc_lo
	v_cmp_ngt_f32_e32 vcc_lo, 0xc2ce8ed0, v1
	v_add_f32_e32 v26, v24, v26
	v_cndmask_b32_e32 v27, 0, v33, vcc_lo
	v_cmp_nlt_f32_e32 vcc_lo, 0x42b17218, v25
	v_cndmask_b32_e32 v25, 0x7f800000, v28, vcc_lo
	v_cmp_nlt_f32_e32 vcc_lo, 0x42b17218, v1
	v_add_f32_e32 v1, v25, v26
	v_cndmask_b32_e32 v27, 0x7f800000, v27, vcc_lo
	v_add_f32_e32 v1, v27, v1
	ds_bpermute_b32 v3, v3, v1
	s_waitcnt lgkmcnt(0)
	v_add_f32_e32 v1, v1, v3
	ds_bpermute_b32 v3, v5, v1
	s_waitcnt lgkmcnt(0)
	;; [unrolled: 3-line block ×5, first 2 shown]
	v_add_f32_e32 v1, v1, v2
	v_div_scale_f32 v2, null, v1, v1, 1.0
	v_div_scale_f32 v6, vcc_lo, 1.0, v1, 1.0
	v_rcp_f32_e32 v3, v2
	v_fma_f32 v5, -v2, v3, 1.0
	v_fmac_f32_e32 v3, v5, v3
	v_mul_f32_e32 v5, v6, v3
	v_fma_f32 v7, -v2, v5, v6
	v_fmac_f32_e32 v5, v7, v3
	v_fma_f32 v2, -v2, v5, v6
	v_div_fmas_f32 v2, v2, v3, v5
	v_div_fixup_f32 v26, v2, v1, 1.0
	v_mul_f32_e32 v1, v4, v26
	v_mul_f32_e32 v2, v8, v26
	;; [unrolled: 1-line block ×8, first 2 shown]
	s_andn2_b32 vcc_lo, exec_lo, s0
	s_cbranch_vccz .LBB8_5
	s_branch .LBB8_6
.LBB8_4:
                                        ; implicit-def: $vgpr1_vgpr2_vgpr3_vgpr4_vgpr5_vgpr6_vgpr7_vgpr8
.LBB8_5:
	s_waitcnt vmcnt(7)
	v_mul_f32_e32 v1, 0xbfb8aa3b, v9
	s_waitcnt vmcnt(6)
	v_mul_f32_e32 v2, 0xbfb8aa3b, v10
	;; [unrolled: 2-line block ×3, first 2 shown]
	v_cmp_nlt_f32_e32 vcc_lo, 0x42ce8ed0, v9
	s_waitcnt vmcnt(4)
	v_cmp_nlt_f32_e64 s2, 0x42ce8ed0, v12
	v_rndne_f32_e32 v4, v1
	v_fma_f32 v5, 0xbfb8aa3b, v9, -v1
	v_rndne_f32_e32 v6, v2
	v_fma_f32 v7, 0xbfb8aa3b, v10, -v2
	v_rndne_f32_e32 v8, v3
	v_sub_f32_e32 v1, v1, v4
	v_fmac_f32_e32 v5, 0xb2a5705f, v9
	v_fma_f32 v21, 0xbfb8aa3b, v11, -v3
	v_sub_f32_e32 v2, v2, v6
	v_fmac_f32_e32 v7, 0xb2a5705f, v10
	v_sub_f32_e32 v3, v3, v8
	v_add_f32_e32 v1, v1, v5
	v_fmac_f32_e32 v21, 0xb2a5705f, v11
	v_cvt_i32_f32_e32 v4, v4
	v_add_f32_e32 v2, v2, v7
	v_cvt_i32_f32_e32 v6, v6
	v_exp_f32_e32 v1, v1
	v_add_f32_e32 v3, v3, v21
	v_cvt_i32_f32_e32 v7, v8
	v_exp_f32_e32 v2, v2
	v_mul_f32_e32 v5, 0xbfb8aa3b, v12
	v_exp_f32_e32 v3, v3
	v_rndne_f32_e32 v8, v5
	v_ldexp_f32 v1, v1, v4
	v_fma_f32 v4, 0xbfb8aa3b, v12, -v5
	v_ldexp_f32 v2, v2, v6
	v_sub_f32_e32 v5, v5, v8
	v_cndmask_b32_e32 v1, 0, v1, vcc_lo
	v_cmp_nlt_f32_e32 vcc_lo, 0x42ce8ed0, v10
	v_ldexp_f32 v3, v3, v7
	v_fmac_f32_e32 v4, 0xb2a5705f, v12
	v_cvt_i32_f32_e32 v8, v8
	v_cndmask_b32_e32 v2, 0, v2, vcc_lo
	v_cmp_nlt_f32_e32 vcc_lo, 0x42ce8ed0, v11
	v_add_f32_e32 v4, v5, v4
	v_cndmask_b32_e32 v3, 0, v3, vcc_lo
	v_cmp_ngt_f32_e32 vcc_lo, 0xc2b17218, v9
	v_exp_f32_e32 v4, v4
	v_cndmask_b32_e32 v1, 0x7f800000, v1, vcc_lo
	v_cmp_ngt_f32_e32 vcc_lo, 0xc2b17218, v10
	v_add_f32_e32 v1, 1.0, v1
	v_cndmask_b32_e32 v2, 0x7f800000, v2, vcc_lo
	v_cmp_ngt_f32_e32 vcc_lo, 0xc2b17218, v11
	v_ldexp_f32 v4, v4, v8
	v_div_scale_f32 v6, null, v1, v1, 1.0
	v_cndmask_b32_e32 v3, 0x7f800000, v3, vcc_lo
	v_add_f32_e32 v2, 1.0, v2
	v_div_scale_f32 v21, vcc_lo, 1.0, v1, 1.0
	v_rcp_f32_e32 v5, v6
	v_add_f32_e32 v3, 1.0, v3
	v_div_scale_f32 v7, null, v2, v2, 1.0
	v_div_scale_f32 v22, s0, 1.0, v2, 1.0
	v_div_scale_f32 v9, null, v3, v3, 1.0
	v_rcp_f32_e32 v10, v7
	v_div_scale_f32 v26, s1, 1.0, v3, 1.0
	v_rcp_f32_e32 v11, v9
	v_fma_f32 v23, -v6, v5, 1.0
	v_cndmask_b32_e64 v4, 0, v4, s2
	v_cmp_ngt_f32_e64 s2, 0xc2b17218, v12
	s_waitcnt vmcnt(3)
	v_mul_f32_e32 v12, 0xbfb8aa3b, v13
	v_fmac_f32_e32 v5, v23, v5
	v_fma_f32 v24, -v7, v10, 1.0
	v_cndmask_b32_e64 v4, 0x7f800000, v4, s2
	v_fma_f32 v25, -v9, v11, 1.0
	v_mul_f32_e32 v8, v21, v5
	v_fmac_f32_e32 v10, v24, v10
	v_add_f32_e32 v4, 1.0, v4
	v_fmac_f32_e32 v11, v25, v11
	v_fma_f32 v25, -v6, v8, v21
	v_mul_f32_e32 v23, v22, v10
	v_mul_f32_e32 v24, v26, v11
	v_fmac_f32_e32 v8, v25, v5
	v_fma_f32 v27, -v7, v23, v22
	v_fma_f32 v25, 0xbfb8aa3b, v13, -v12
	v_fma_f32 v28, -v9, v24, v26
	v_fma_f32 v6, -v6, v8, v21
	v_fmac_f32_e32 v23, v27, v10
	v_fmac_f32_e32 v25, 0xb2a5705f, v13
	v_div_scale_f32 v21, null, v4, v4, 1.0
	v_fmac_f32_e32 v24, v28, v11
	v_fma_f32 v7, -v7, v23, v22
	v_rndne_f32_e32 v22, v12
	v_div_fmas_f32 v5, v6, v5, v8
	s_mov_b32 vcc_lo, s0
	v_fma_f32 v9, -v9, v24, v26
	v_div_fmas_f32 v6, v7, v10, v23
	v_sub_f32_e32 v7, v12, v22
	s_mov_b32 vcc_lo, s1
	s_waitcnt vmcnt(2)
	v_mul_f32_e32 v10, 0xbfb8aa3b, v14
	v_div_fmas_f32 v8, v9, v11, v24
	v_div_fixup_f32 v1, v5, v1, 1.0
	v_add_f32_e32 v7, v7, v25
	v_div_fixup_f32 v2, v6, v2, 1.0
	v_rndne_f32_e32 v6, v10
	v_div_fixup_f32 v3, v8, v3, 1.0
	s_waitcnt vmcnt(1)
	v_mul_f32_e32 v8, 0xbfb8aa3b, v15
	v_exp_f32_e32 v5, v7
	v_fma_f32 v7, 0xbfb8aa3b, v14, -v10
	v_cvt_i32_f32_e32 v12, v22
	v_sub_f32_e32 v10, v10, v6
	v_rndne_f32_e32 v22, v8
	v_fma_f32 v23, 0xbfb8aa3b, v15, -v8
	v_fmac_f32_e32 v7, 0xb2a5705f, v14
	v_rcp_f32_e32 v9, v21
	s_waitcnt vmcnt(0)
	v_mul_f32_e32 v24, 0xbfb8aa3b, v16
	v_sub_f32_e32 v8, v8, v22
	v_fmac_f32_e32 v23, 0xb2a5705f, v15
	v_add_f32_e32 v7, v10, v7
	v_ldexp_f32 v5, v5, v12
	v_cmp_nlt_f32_e32 vcc_lo, 0x42ce8ed0, v13
	v_rndne_f32_e32 v10, v24
	v_add_f32_e32 v8, v8, v23
	v_exp_f32_e32 v7, v7
	v_fma_f32 v11, -v21, v9, 1.0
	v_fma_f32 v12, 0xbfb8aa3b, v16, -v24
	v_cndmask_b32_e32 v5, 0, v5, vcc_lo
	v_cmp_ngt_f32_e32 vcc_lo, 0xc2b17218, v13
	v_exp_f32_e32 v8, v8
	v_cvt_i32_f32_e32 v6, v6
	v_sub_f32_e32 v23, v24, v10
	v_fmac_f32_e32 v12, 0xb2a5705f, v16
	v_cndmask_b32_e32 v5, 0x7f800000, v5, vcc_lo
	v_fmac_f32_e32 v9, v11, v9
	v_cvt_i32_f32_e32 v11, v22
	v_ldexp_f32 v6, v7, v6
	v_cmp_nlt_f32_e32 vcc_lo, 0x42ce8ed0, v14
	v_add_f32_e32 v12, v23, v12
	v_cvt_i32_f32_e32 v10, v10
	v_ldexp_f32 v8, v8, v11
	v_add_f32_e32 v5, 1.0, v5
	v_cndmask_b32_e32 v6, 0, v6, vcc_lo
	v_cmp_nlt_f32_e32 vcc_lo, 0x42ce8ed0, v15
	v_exp_f32_e32 v7, v12
	v_div_scale_f32 v12, null, v5, v5, 1.0
	v_cndmask_b32_e32 v8, 0, v8, vcc_lo
	v_cmp_ngt_f32_e32 vcc_lo, 0xc2b17218, v14
	v_cndmask_b32_e32 v6, 0x7f800000, v6, vcc_lo
	v_cmp_ngt_f32_e32 vcc_lo, 0xc2b17218, v15
	v_ldexp_f32 v7, v7, v10
	v_rcp_f32_e32 v10, v12
	v_add_f32_e32 v6, 1.0, v6
	v_cndmask_b32_e32 v8, 0x7f800000, v8, vcc_lo
	v_cmp_nlt_f32_e32 vcc_lo, 0x42ce8ed0, v16
	v_div_scale_f32 v11, null, v6, v6, 1.0
	v_cndmask_b32_e32 v7, 0, v7, vcc_lo
	v_cmp_ngt_f32_e32 vcc_lo, 0xc2b17218, v16
	v_add_f32_e32 v8, 1.0, v8
	v_rcp_f32_e32 v15, v11
	v_cndmask_b32_e32 v7, 0x7f800000, v7, vcc_lo
	v_div_scale_f32 v13, null, v8, v8, 1.0
	v_div_scale_f32 v14, vcc_lo, 1.0, v4, 1.0
	v_add_f32_e32 v16, 1.0, v7
	v_rcp_f32_e32 v22, v13
	v_fma_f32 v7, -v12, v10, 1.0
	v_mul_f32_e32 v23, v14, v9
	v_fma_f32 v25, -v11, v15, 1.0
	v_div_scale_f32 v24, null, v16, v16, 1.0
	v_fmac_f32_e32 v10, v7, v10
	v_div_scale_f32 v7, s0, 1.0, v5, 1.0
	v_rcp_f32_e32 v26, v24
	v_fma_f32 v28, -v13, v22, 1.0
	v_fma_f32 v27, -v21, v23, v14
	v_mul_f32_e32 v29, v7, v10
	v_fmac_f32_e32 v15, v25, v15
	v_div_scale_f32 v25, s1, 1.0, v6, 1.0
	v_fmac_f32_e32 v22, v28, v22
	v_div_scale_f32 v28, s2, 1.0, v8, 1.0
	v_fma_f32 v30, -v24, v26, 1.0
	v_fmac_f32_e32 v23, v27, v9
	v_fma_f32 v27, -v12, v29, v7
	v_mul_f32_e32 v31, v25, v15
	v_mul_f32_e32 v32, v28, v22
	v_fmac_f32_e32 v26, v30, v26
	v_div_scale_f32 v30, s3, 1.0, v16, 1.0
	v_fmac_f32_e32 v29, v27, v10
	v_fma_f32 v14, -v21, v23, v14
	v_fma_f32 v21, -v11, v31, v25
	v_mul_f32_e32 v33, v30, v26
	v_fma_f32 v27, -v13, v32, v28
	v_fma_f32 v7, -v12, v29, v7
	v_div_fmas_f32 v9, v14, v9, v23
	v_fmac_f32_e32 v31, v21, v15
	v_fma_f32 v12, -v24, v33, v30
	v_fmac_f32_e32 v32, v27, v22
	s_mov_b32 vcc_lo, s0
	v_div_fixup_f32 v4, v9, v4, 1.0
	v_div_fmas_f32 v7, v7, v10, v29
	v_fmac_f32_e32 v33, v12, v26
	v_fma_f32 v10, -v11, v31, v25
	v_fma_f32 v11, -v13, v32, v28
	s_mov_b32 vcc_lo, s1
	v_div_fixup_f32 v5, v7, v5, 1.0
	v_fma_f32 v12, -v24, v33, v30
	v_div_fmas_f32 v10, v10, v15, v31
	s_mov_b32 vcc_lo, s2
	v_div_fmas_f32 v11, v11, v22, v32
	s_mov_b32 vcc_lo, s3
	v_div_fixup_f32 v6, v10, v6, 1.0
	v_div_fmas_f32 v12, v12, v26, v33
	v_div_fixup_f32 v7, v11, v8, 1.0
	v_div_fixup_f32 v8, v12, v16, 1.0
.LBB8_6:
	s_waitcnt vmcnt(0)
	v_mov_b32_e32 v16, v8
	v_mov_b32_e32 v15, v7
	;; [unrolled: 1-line block ×8, first 2 shown]
.LBB8_7:
	s_lshr_b32 s0, s4, 8
	s_cmp_gt_i32 s17, 0
	s_mov_b32 s1, 0
	s_cbranch_scc1 .LBB8_9
; %bb.8:
	s_bitcmp1_b32 s0, 0
	s_cselect_b32 s4, -1, 0
	s_branch .LBB8_10
.LBB8_9:
	s_mov_b32 s1, -1
                                        ; implicit-def: $sgpr4
.LBB8_10:
	v_mov_b32_e32 v8, 0
	v_add_nc_u32_e32 v27, 32, v0
	v_add_nc_u32_e32 v26, 64, v0
	;; [unrolled: 1-line block ×3, first 2 shown]
	v_or_b32_e32 v24, 0x80, v0
	v_add_nc_u32_e32 v23, 0xa0, v0
	v_add_nc_u32_e32 v22, 0xc0, v0
	;; [unrolled: 1-line block ×3, first 2 shown]
	v_mbcnt_lo_u32_b32 v28, -1, 0
	v_mov_b32_e32 v7, v8
	v_mov_b32_e32 v6, v8
	;; [unrolled: 1-line block ×8, first 2 shown]
	s_andn2_b32 vcc_lo, exec_lo, s1
	s_cbranch_vccnz .LBB8_37
; %bb.11:
	s_clause 0x7
	global_load_dword v8, v20, s[14:15]
	global_load_dword v36, v20, s[14:15] offset:128
	global_load_dword v37, v20, s[14:15] offset:256
	;; [unrolled: 1-line block ×7, first 2 shown]
	s_waitcnt vmcnt(15)
	v_cmp_o_f32_e32 vcc_lo, v9, v9
	v_xor_b32_e32 v2, 16, v28
	v_xor_b32_e32 v3, 8, v28
	;; [unrolled: 1-line block ×4, first 2 shown]
	v_cndmask_b32_e32 v29, 0xff7fffff, v9, vcc_lo
	s_waitcnt vmcnt(14)
	v_cmp_o_f32_e32 vcc_lo, v10, v10
	v_xor_b32_e32 v6, 1, v28
	v_mov_b32_e32 v30, 0
	v_mov_b32_e32 v1, 0
	s_bitcmp1_b32 s0, 0
	v_cndmask_b32_e32 v31, 0xff7fffff, v10, vcc_lo
	s_waitcnt vmcnt(13)
	v_cmp_o_f32_e32 vcc_lo, v11, v11
	v_mov_b32_e32 v7, v30
	s_mov_b32 s5, 0
	s_cselect_b32 s4, -1, 0
	v_cndmask_b32_e32 v11, 0xff7fffff, v11, vcc_lo
	s_waitcnt vmcnt(12)
	v_cmp_o_f32_e32 vcc_lo, v12, v12
	v_cndmask_b32_e32 v12, 0xff7fffff, v12, vcc_lo
	s_waitcnt vmcnt(11)
	v_cmp_o_f32_e32 vcc_lo, v13, v13
	;; [unrolled: 3-line block ×5, first 2 shown]
	v_cndmask_b32_e32 v16, 0xff7fffff, v16, vcc_lo
	v_add_co_u32 v9, vcc_lo, s12, v18
	v_add_co_ci_u32_e64 v10, null, s13, v19, vcc_lo
	v_cmp_gt_i32_e32 vcc_lo, 32, v2
	v_cndmask_b32_e32 v18, v28, v2, vcc_lo
	v_cmp_gt_i32_e32 vcc_lo, 32, v3
	v_mov_b32_e32 v2, v30
	v_lshlrev_b32_e32 v18, 2, v18
	v_cndmask_b32_e32 v19, v28, v3, vcc_lo
	v_cmp_gt_i32_e32 vcc_lo, 32, v4
	v_mov_b32_e32 v3, v30
	v_lshlrev_b32_e32 v19, 2, v19
	;; [unrolled: 4-line block ×4, first 2 shown]
	v_cndmask_b32_e32 v34, v28, v6, vcc_lo
	v_mov_b32_e32 v6, v30
	v_lshlrev_b32_e32 v34, 2, v34
	s_waitcnt vmcnt(7)
	v_add_f32_e32 v35, v29, v8
	s_waitcnt vmcnt(6)
	v_add_f32_e32 v36, v31, v36
	s_waitcnt vmcnt(5)
	v_add_f32_e32 v37, v11, v37
	s_waitcnt vmcnt(4)
	v_add_f32_e32 v38, v12, v38
	s_waitcnt vmcnt(3)
	v_add_f32_e32 v39, v13, v39
	s_waitcnt vmcnt(2)
	v_add_f32_e32 v40, v14, v40
	s_waitcnt vmcnt(1)
	v_add_f32_e32 v41, v15, v41
	s_waitcnt vmcnt(0)
	v_add_f32_e32 v42, v16, v42
	v_mov_b32_e32 v8, v30
	s_branch .LBB8_13
.LBB8_12:                               ;   in Loop: Header=BB8_13 Depth=1
	s_or_b32 exec_lo, exec_lo, s0
	s_and_b32 s0, s5, 31
	s_waitcnt lgkmcnt(0)
	v_mov_b32_e32 v51, v8
	v_mov_b32_e32 v44, v1
	v_cmp_eq_u32_e32 vcc_lo, s0, v0
	s_lshr_b32 m0, s5, 5
	v_mov_b32_e32 v50, v7
	v_mov_b32_e32 v49, v6
	;; [unrolled: 1-line block ×6, first 2 shown]
	v_movreld_b32_e32 v44, v43
	v_cndmask_b32_e32 v1, v1, v44, vcc_lo
	v_cndmask_b32_e32 v2, v2, v45, vcc_lo
	;; [unrolled: 1-line block ×8, first 2 shown]
	v_add_co_u32 v9, vcc_lo, v9, 4
	v_add_co_ci_u32_e64 v10, null, 0, v10, vcc_lo
	s_add_i32 s5, s5, 1
	s_cmp_eq_u32 s17, s5
	s_cbranch_scc1 .LBB8_37
.LBB8_13:                               ; =>This Inner Loop Header: Depth=1
	v_cmp_gt_f32_e32 vcc_lo, v36, v35
	v_cndmask_b32_e32 v44, v35, v36, vcc_lo
	v_cndmask_b32_e32 v43, v29, v31, vcc_lo
	;; [unrolled: 1-line block ×3, first 2 shown]
	v_cmp_gt_f32_e64 s0, v37, v44
	v_cndmask_b32_e64 v44, v44, v37, s0
	v_cndmask_b32_e64 v43, v43, v11, s0
	v_cndmask_b32_e64 v45, v45, v26, s0
	v_cmp_gt_f32_e64 s1, v38, v44
	v_cndmask_b32_e64 v44, v44, v38, s1
	v_cndmask_b32_e64 v43, v43, v12, s1
	v_cndmask_b32_e64 v45, v45, v25, s1
	v_cmp_gt_f32_e64 s2, v39, v44
	v_cndmask_b32_e64 v44, v44, v39, s2
	v_cndmask_b32_e64 v43, v43, v13, s2
	v_cndmask_b32_e64 v45, v45, v24, s2
	s_mov_b32 s2, exec_lo
	v_cmp_gt_f32_e64 s3, v40, v44
	v_cndmask_b32_e64 v44, v44, v40, s3
	v_cndmask_b32_e64 v43, v43, v14, s3
	;; [unrolled: 1-line block ×3, first 2 shown]
	v_cmp_gt_f32_e32 vcc_lo, v41, v44
	v_cndmask_b32_e32 v44, v44, v41, vcc_lo
	v_cndmask_b32_e32 v43, v43, v15, vcc_lo
	v_cmp_gt_f32_e64 s0, v42, v44
	v_cndmask_b32_e64 v45, v44, v42, s0
	v_cndmask_b32_e32 v44, v46, v22, vcc_lo
	v_cndmask_b32_e64 v43, v43, v16, s0
	ds_bpermute_b32 v46, v18, v45
	v_cndmask_b32_e64 v44, v44, v21, s0
	ds_bpermute_b32 v48, v18, v43
	ds_bpermute_b32 v47, v18, v44
	s_waitcnt lgkmcnt(2)
	v_cmp_lt_f32_e64 s1, v45, v46
	v_cmpx_nlt_f32_e32 v45, v46
	s_cbranch_execz .LBB8_15
; %bb.14:                               ;   in Loop: Header=BB8_13 Depth=1
	v_cmp_eq_f32_e32 vcc_lo, v45, v46
	s_waitcnt lgkmcnt(0)
	v_cmp_lt_i32_e64 s0, v47, v44
	s_andn2_b32 s1, s1, exec_lo
	s_and_b32 s0, vcc_lo, s0
	s_and_b32 s0, s0, exec_lo
	s_or_b32 s1, s1, s0
.LBB8_15:                               ;   in Loop: Header=BB8_13 Depth=1
	s_or_b32 exec_lo, exec_lo, s2
	s_and_saveexec_b32 s0, s1
	s_cbranch_execz .LBB8_17
; %bb.16:                               ;   in Loop: Header=BB8_13 Depth=1
	v_mov_b32_e32 v45, v46
	s_waitcnt lgkmcnt(1)
	v_mov_b32_e32 v43, v48
	s_waitcnt lgkmcnt(0)
	v_mov_b32_e32 v44, v47
.LBB8_17:                               ;   in Loop: Header=BB8_13 Depth=1
	s_or_b32 exec_lo, exec_lo, s0
	s_waitcnt lgkmcnt(1)
	ds_bpermute_b32 v48, v19, v45
	s_waitcnt lgkmcnt(1)
	ds_bpermute_b32 v47, v19, v43
	ds_bpermute_b32 v46, v19, v44
	s_mov_b32 s2, exec_lo
	s_waitcnt lgkmcnt(2)
	v_cmp_lt_f32_e64 s1, v45, v48
	v_cmpx_nlt_f32_e32 v45, v48
	s_cbranch_execz .LBB8_19
; %bb.18:                               ;   in Loop: Header=BB8_13 Depth=1
	v_cmp_eq_f32_e32 vcc_lo, v45, v48
	s_waitcnt lgkmcnt(0)
	v_cmp_lt_i32_e64 s0, v46, v44
	s_andn2_b32 s1, s1, exec_lo
	s_and_b32 s0, vcc_lo, s0
	s_and_b32 s0, s0, exec_lo
	s_or_b32 s1, s1, s0
.LBB8_19:                               ;   in Loop: Header=BB8_13 Depth=1
	s_or_b32 exec_lo, exec_lo, s2
	s_and_saveexec_b32 s0, s1
	s_cbranch_execz .LBB8_21
; %bb.20:                               ;   in Loop: Header=BB8_13 Depth=1
	v_mov_b32_e32 v45, v48
	s_waitcnt lgkmcnt(1)
	v_mov_b32_e32 v43, v47
	s_waitcnt lgkmcnt(0)
	v_mov_b32_e32 v44, v46
.LBB8_21:                               ;   in Loop: Header=BB8_13 Depth=1
	s_or_b32 exec_lo, exec_lo, s0
	ds_bpermute_b32 v48, v32, v45
	s_waitcnt lgkmcnt(2)
	ds_bpermute_b32 v47, v32, v43
	s_waitcnt lgkmcnt(2)
	ds_bpermute_b32 v46, v32, v44
	s_mov_b32 s2, exec_lo
	s_waitcnt lgkmcnt(2)
	v_cmp_lt_f32_e64 s1, v45, v48
	v_cmpx_nlt_f32_e32 v45, v48
	s_cbranch_execz .LBB8_23
; %bb.22:                               ;   in Loop: Header=BB8_13 Depth=1
	v_cmp_eq_f32_e32 vcc_lo, v45, v48
	s_waitcnt lgkmcnt(0)
	v_cmp_lt_i32_e64 s0, v46, v44
	s_andn2_b32 s1, s1, exec_lo
	s_and_b32 s0, vcc_lo, s0
	s_and_b32 s0, s0, exec_lo
	s_or_b32 s1, s1, s0
.LBB8_23:                               ;   in Loop: Header=BB8_13 Depth=1
	s_or_b32 exec_lo, exec_lo, s2
	s_and_saveexec_b32 s0, s1
	s_cbranch_execz .LBB8_25
; %bb.24:                               ;   in Loop: Header=BB8_13 Depth=1
	v_mov_b32_e32 v45, v48
	s_waitcnt lgkmcnt(1)
	v_mov_b32_e32 v43, v47
	s_waitcnt lgkmcnt(0)
	v_mov_b32_e32 v44, v46
.LBB8_25:                               ;   in Loop: Header=BB8_13 Depth=1
	s_or_b32 exec_lo, exec_lo, s0
	ds_bpermute_b32 v48, v33, v45
	s_waitcnt lgkmcnt(2)
	ds_bpermute_b32 v47, v33, v43
	s_waitcnt lgkmcnt(2)
	;; [unrolled: 30-line block ×3, first 2 shown]
	ds_bpermute_b32 v46, v34, v44
	s_mov_b32 s2, exec_lo
	s_waitcnt lgkmcnt(2)
	v_cmp_lt_f32_e64 s1, v45, v48
	v_cmpx_nlt_f32_e32 v45, v48
	s_cbranch_execz .LBB8_31
; %bb.30:                               ;   in Loop: Header=BB8_13 Depth=1
	v_cmp_eq_f32_e32 vcc_lo, v45, v48
	s_waitcnt lgkmcnt(0)
	v_cmp_lt_i32_e64 s0, v46, v44
	s_andn2_b32 s1, s1, exec_lo
	s_and_b32 s0, vcc_lo, s0
	s_and_b32 s0, s0, exec_lo
	s_or_b32 s1, s1, s0
.LBB8_31:                               ;   in Loop: Header=BB8_13 Depth=1
	s_or_b32 exec_lo, exec_lo, s2
	s_and_saveexec_b32 s0, s1
	s_cbranch_execz .LBB8_33
; %bb.32:                               ;   in Loop: Header=BB8_13 Depth=1
	s_waitcnt lgkmcnt(1)
	v_mov_b32_e32 v43, v47
	s_waitcnt lgkmcnt(0)
	v_mov_b32_e32 v44, v46
.LBB8_33:                               ;   in Loop: Header=BB8_13 Depth=1
	s_or_b32 exec_lo, exec_lo, s0
	v_and_b32_e32 v45, 31, v44
	v_cmp_eq_u32_e32 vcc_lo, v45, v0
	s_and_saveexec_b32 s1, vcc_lo
	s_cbranch_execz .LBB8_35
; %bb.34:                               ;   in Loop: Header=BB8_13 Depth=1
	v_ashrrev_i32_e32 v45, 31, v44
	v_lshrrev_b32_e32 v45, 27, v45
	v_add_nc_u32_e32 v45, v44, v45
	v_ashrrev_i32_e32 v45, 5, v45
	v_cmp_ne_u32_e64 s0, 7, v45
	v_cndmask_b32_e64 v42, 0xff800000, v42, s0
	v_cmp_ne_u32_e64 s0, 6, v45
	v_cndmask_b32_e64 v41, 0xff800000, v41, s0
	;; [unrolled: 2-line block ×8, first 2 shown]
.LBB8_35:                               ;   in Loop: Header=BB8_13 Depth=1
	s_or_b32 exec_lo, exec_lo, s1
	s_and_saveexec_b32 s0, vcc_lo
	s_cbranch_execz .LBB8_12
; %bb.36:                               ;   in Loop: Header=BB8_13 Depth=1
	v_add_f32_e32 v45, v30, v43
	global_store_dword v[9:10], v44, off
	v_cndmask_b32_e64 v30, v30, v45, s4
	s_branch .LBB8_12
.LBB8_37:
	s_and_b32 vcc_lo, exec_lo, s4
	s_cbranch_vccz .LBB8_39
; %bb.38:
	s_waitcnt vmcnt(7)
	v_xor_b32_e32 v9, 16, v28
	s_waitcnt vmcnt(6)
	v_xor_b32_e32 v10, 8, v28
	;; [unrolled: 2-line block ×3, first 2 shown]
	v_cmp_gt_i32_e32 vcc_lo, 32, v9
	v_cndmask_b32_e32 v9, v28, v9, vcc_lo
	v_cmp_gt_i32_e32 vcc_lo, 32, v10
	v_lshlrev_b32_e32 v9, 2, v9
	v_cndmask_b32_e32 v10, v28, v10, vcc_lo
	v_cmp_gt_i32_e32 vcc_lo, 32, v11
	ds_bpermute_b32 v9, v9, v30
	v_lshlrev_b32_e32 v10, 2, v10
	v_cndmask_b32_e32 v11, v28, v11, vcc_lo
	v_lshlrev_b32_e32 v11, 2, v11
	s_waitcnt lgkmcnt(0)
	v_add_f32_e32 v9, v30, v9
	ds_bpermute_b32 v10, v10, v9
	s_waitcnt lgkmcnt(0)
	v_add_f32_e32 v9, v9, v10
	ds_bpermute_b32 v10, v11, v9
	v_xor_b32_e32 v11, 2, v28
	v_cmp_gt_i32_e32 vcc_lo, 32, v11
	v_cndmask_b32_e32 v11, v28, v11, vcc_lo
	v_lshlrev_b32_e32 v11, 2, v11
	s_waitcnt lgkmcnt(0)
	v_add_f32_e32 v9, v9, v10
	ds_bpermute_b32 v10, v11, v9
	v_xor_b32_e32 v11, 1, v28
	v_cmp_gt_i32_e32 vcc_lo, 32, v11
	v_cndmask_b32_e32 v11, v28, v11, vcc_lo
	v_lshlrev_b32_e32 v11, 2, v11
	s_waitcnt lgkmcnt(0)
	v_add_f32_e32 v9, v9, v10
	ds_bpermute_b32 v10, v11, v9
	v_max_f32_e64 v11, s18, s18
	s_waitcnt lgkmcnt(0)
	v_add_f32_e32 v9, v9, v10
	v_max_f32_e32 v9, v9, v11
	v_div_scale_f32 v10, null, v9, v9, 1.0
	s_waitcnt vmcnt(3)
	v_div_scale_f32 v13, vcc_lo, 1.0, v9, 1.0
	v_rcp_f32_e32 v11, v10
	v_fma_f32 v12, -v10, v11, 1.0
	v_fmac_f32_e32 v11, v12, v11
	v_mul_f32_e32 v12, v13, v11
	s_waitcnt vmcnt(2)
	v_fma_f32 v14, -v10, v12, v13
	v_fmac_f32_e32 v12, v14, v11
	v_fma_f32 v10, -v10, v12, v13
	v_div_fmas_f32 v10, v10, v11, v12
	v_div_fixup_f32 v9, v10, v9, 1.0
	v_mul_f32_e32 v1, v9, v1
	v_mul_f32_e32 v2, v9, v2
	v_mul_f32_e32 v3, v9, v3
	v_mul_f32_e32 v4, v9, v4
	v_mul_f32_e32 v5, v9, v5
	v_mul_f32_e32 v6, v9, v6
	v_mul_f32_e32 v7, v9, v7
	v_mul_f32_e32 v8, v9, v8
.LBB8_39:
	v_cmp_gt_i32_e64 s0, s17, v27
	v_cmp_gt_i32_e64 s1, s17, v26
	;; [unrolled: 1-line block ×8, first 2 shown]
	s_andn2_b32 vcc_lo, exec_lo, s8
	s_cbranch_vccnz .LBB8_41
; %bb.40:
	s_waitcnt vmcnt(7)
	v_max_f32_e32 v9, v1, v1
	s_waitcnt vmcnt(6)
	v_max_f32_e32 v10, v2, v2
	s_waitcnt vmcnt(5)
	v_max_f32_e32 v11, v3, v3
	s_waitcnt vmcnt(3)
	v_xor_b32_e32 v13, 4, v28
	s_waitcnt vmcnt(2)
	v_xor_b32_e32 v14, 2, v28
	v_max_f32_e32 v9, 0xff800000, v9
	s_waitcnt vmcnt(1)
	v_xor_b32_e32 v15, 1, v28
	v_cndmask_b32_e64 v9, 0xff800000, v9, s7
	v_max_f32_e32 v10, v9, v10
	v_cndmask_b32_e64 v9, v9, v10, s0
	v_max_f32_e32 v10, v9, v11
	v_max_f32_e32 v11, v4, v4
	v_cndmask_b32_e64 v9, v9, v10, s1
	v_max_f32_e32 v10, v9, v11
	v_max_f32_e32 v11, v5, v5
	v_cndmask_b32_e64 v9, v9, v10, s2
	v_max_f32_e32 v10, v9, v11
	v_cndmask_b32_e64 v9, v9, v10, s3
	v_max_f32_e32 v10, v6, v6
	v_max_f32_e32 v11, v9, v9
	v_max_f32_e32 v10, v11, v10
	v_cndmask_b32_e64 v9, v9, v10, s4
	v_max_f32_e32 v10, v7, v7
	v_max_f32_e32 v11, v9, v9
	v_max_f32_e32 v10, v11, v10
	v_max_f32_e32 v11, v8, v8
	v_cndmask_b32_e64 v9, v9, v10, s5
	v_xor_b32_e32 v10, 16, v28
	v_max_f32_e32 v12, v9, v9
	v_cmp_gt_i32_e32 vcc_lo, 32, v10
	v_max_f32_e32 v11, v12, v11
	v_cndmask_b32_e32 v10, v28, v10, vcc_lo
	v_xor_b32_e32 v12, 8, v28
	v_cndmask_b32_e64 v9, v9, v11, s6
	v_lshlrev_b32_e32 v10, 2, v10
	v_cmp_gt_i32_e32 vcc_lo, 32, v12
	ds_bpermute_b32 v11, v10, v9
	v_cndmask_b32_e32 v12, v28, v12, vcc_lo
	v_max_f32_e32 v9, v9, v9
	v_cmp_gt_i32_e32 vcc_lo, 32, v13
	v_lshlrev_b32_e32 v12, 2, v12
	v_cndmask_b32_e32 v13, v28, v13, vcc_lo
	v_cmp_gt_i32_e32 vcc_lo, 32, v14
	v_lshlrev_b32_e32 v13, 2, v13
	v_cndmask_b32_e32 v14, v28, v14, vcc_lo
	v_cmp_gt_i32_e32 vcc_lo, 32, v15
	v_lshlrev_b32_e32 v14, 2, v14
	s_waitcnt lgkmcnt(0)
	v_max_f32_e32 v11, v11, v11
	v_cndmask_b32_e32 v15, v28, v15, vcc_lo
	v_max_f32_e32 v9, v9, v11
	v_lshlrev_b32_e32 v15, 2, v15
	ds_bpermute_b32 v11, v12, v9
	s_waitcnt lgkmcnt(0)
	v_max_f32_e32 v11, v11, v11
	v_max_f32_e32 v9, v9, v11
	ds_bpermute_b32 v11, v13, v9
	s_waitcnt lgkmcnt(0)
	v_max_f32_e32 v11, v11, v11
	v_max_f32_e32 v9, v9, v11
	;; [unrolled: 4-line block ×4, first 2 shown]
	v_sub_f32_e32 v1, v1, v9
	v_sub_f32_e32 v2, v2, v9
	;; [unrolled: 1-line block ×8, first 2 shown]
	v_mul_f32_e32 v9, 0x3fb8aa3b, v1
	v_mul_f32_e32 v11, 0x3fb8aa3b, v2
	s_waitcnt vmcnt(0)
	v_mul_f32_e32 v16, 0x3fb8aa3b, v3
	v_mul_f32_e32 v18, 0x3fb8aa3b, v4
	v_cmp_ngt_f32_e32 vcc_lo, 0xc2ce8ed0, v1
	v_fma_f32 v31, 0x3fb8aa3b, v1, -v9
	v_rndne_f32_e32 v32, v9
	v_fma_f32 v33, 0x3fb8aa3b, v2, -v11
	v_rndne_f32_e32 v34, v11
	v_fma_f32 v35, 0x3fb8aa3b, v3, -v16
	v_fmac_f32_e32 v31, 0x32a5705f, v1
	v_sub_f32_e32 v9, v9, v32
	v_fmac_f32_e32 v33, 0x32a5705f, v2
	v_sub_f32_e32 v11, v11, v34
	v_rndne_f32_e32 v36, v16
	v_cvt_i32_f32_e32 v32, v32
	v_add_f32_e32 v9, v9, v31
	v_cvt_i32_f32_e32 v34, v34
	v_add_f32_e32 v11, v11, v33
	v_fmac_f32_e32 v35, 0x32a5705f, v3
	v_sub_f32_e32 v16, v16, v36
	v_exp_f32_e32 v9, v9
	v_fma_f32 v37, 0x3fb8aa3b, v4, -v18
	v_exp_f32_e32 v11, v11
	v_rndne_f32_e32 v38, v18
	v_add_f32_e32 v16, v16, v35
	v_mul_f32_e32 v19, 0x3fb8aa3b, v5
	v_fmac_f32_e32 v37, 0x32a5705f, v4
	v_cvt_i32_f32_e32 v31, v36
	v_sub_f32_e32 v18, v18, v38
	v_exp_f32_e32 v16, v16
	v_ldexp_f32 v9, v9, v32
	v_fma_f32 v39, 0x3fb8aa3b, v5, -v19
	v_ldexp_f32 v11, v11, v34
	v_rndne_f32_e32 v40, v19
	v_add_f32_e32 v18, v18, v37
	v_cndmask_b32_e32 v9, 0, v9, vcc_lo
	v_cmp_ngt_f32_e32 vcc_lo, 0xc2ce8ed0, v2
	v_mul_f32_e32 v28, 0x3fb8aa3b, v6
	v_fmac_f32_e32 v39, 0x32a5705f, v5
	v_sub_f32_e32 v19, v19, v40
	v_ldexp_f32 v16, v16, v31
	v_cndmask_b32_e32 v11, 0, v11, vcc_lo
	v_cmp_nlt_f32_e32 vcc_lo, 0x42b17218, v1
	v_fma_f32 v41, 0x3fb8aa3b, v6, -v28
	v_rndne_f32_e32 v42, v28
	v_cvt_i32_f32_e32 v33, v38
	v_mul_f32_e32 v29, 0x3fb8aa3b, v7
	v_cndmask_b32_e32 v1, 0x7f800000, v9, vcc_lo
	v_cmp_nlt_f32_e32 vcc_lo, 0x42b17218, v2
	v_exp_f32_e32 v9, v18
	v_fmac_f32_e32 v41, 0x32a5705f, v6
	v_sub_f32_e32 v28, v28, v42
	v_cndmask_b32_e64 v1, 0, v1, s7
	v_cndmask_b32_e32 v2, 0x7f800000, v11, vcc_lo
	v_cmp_ngt_f32_e32 vcc_lo, 0xc2ce8ed0, v3
	v_add_f32_e32 v11, v19, v39
	v_fma_f32 v43, 0x3fb8aa3b, v7, -v29
	v_rndne_f32_e32 v44, v29
	v_add_f32_e32 v19, v2, v1
	v_cndmask_b32_e32 v16, 0, v16, vcc_lo
	v_cmp_nlt_f32_e32 vcc_lo, 0x42b17218, v3
	v_exp_f32_e32 v11, v11
	v_ldexp_f32 v9, v9, v33
	v_cvt_i32_f32_e32 v36, v40
	v_mul_f32_e32 v30, 0x3fb8aa3b, v8
	v_cndmask_b32_e32 v3, 0x7f800000, v16, vcc_lo
	v_cndmask_b32_e64 v16, v1, v19, s0
	v_cmp_ngt_f32_e32 vcc_lo, 0xc2ce8ed0, v4
	v_add_f32_e32 v19, v28, v41
	v_fmac_f32_e32 v43, 0x32a5705f, v7
	v_sub_f32_e32 v18, v29, v44
	v_add_f32_e32 v28, v16, v3
	v_cndmask_b32_e32 v9, 0, v9, vcc_lo
	v_cmp_nlt_f32_e32 vcc_lo, 0x42b17218, v4
	v_exp_f32_e32 v19, v19
	v_ldexp_f32 v11, v11, v36
	v_fma_f32 v45, 0x3fb8aa3b, v8, -v30
	v_rndne_f32_e32 v46, v30
	v_cndmask_b32_e32 v4, 0x7f800000, v9, vcc_lo
	v_cndmask_b32_e64 v9, v16, v28, s1
	v_cmp_ngt_f32_e32 vcc_lo, 0xc2ce8ed0, v5
	v_cvt_i32_f32_e32 v35, v42
	v_add_f32_e32 v16, v18, v43
	v_fmac_f32_e32 v45, 0x32a5705f, v8
	v_add_f32_e32 v28, v9, v4
	v_cndmask_b32_e32 v11, 0, v11, vcc_lo
	v_cmp_nlt_f32_e32 vcc_lo, 0x42b17218, v5
	v_sub_f32_e32 v18, v30, v46
	v_exp_f32_e32 v16, v16
	v_ldexp_f32 v19, v19, v35
	v_cndmask_b32_e64 v9, v9, v28, s2
	v_cndmask_b32_e32 v5, 0x7f800000, v11, vcc_lo
	v_cmp_ngt_f32_e32 vcc_lo, 0xc2ce8ed0, v6
	v_add_f32_e32 v11, v18, v45
	v_cvt_i32_f32_e32 v18, v44
	v_cndmask_b32_e64 v2, 0, v2, s0
	v_add_f32_e32 v28, v9, v5
	v_cndmask_b32_e32 v19, 0, v19, vcc_lo
	v_cmp_nlt_f32_e32 vcc_lo, 0x42b17218, v6
	v_exp_f32_e32 v11, v11
	v_ldexp_f32 v16, v16, v18
	v_cndmask_b32_e64 v9, v9, v28, s3
	v_cvt_i32_f32_e32 v18, v46
	v_cndmask_b32_e32 v6, 0x7f800000, v19, vcc_lo
	v_cmp_ngt_f32_e32 vcc_lo, 0xc2ce8ed0, v7
	v_cndmask_b32_e64 v3, 0, v3, s1
	v_cndmask_b32_e64 v4, 0, v4, s2
	;; [unrolled: 1-line block ×3, first 2 shown]
	v_add_f32_e32 v19, v9, v6
	v_cndmask_b32_e32 v16, 0, v16, vcc_lo
	v_cmp_nlt_f32_e32 vcc_lo, 0x42b17218, v7
	v_ldexp_f32 v11, v11, v18
	v_cndmask_b32_e64 v6, 0, v6, s4
	v_cndmask_b32_e64 v9, v9, v19, s4
	v_cndmask_b32_e32 v7, 0x7f800000, v16, vcc_lo
	v_cmp_ngt_f32_e32 vcc_lo, 0xc2ce8ed0, v8
	v_add_f32_e32 v16, v9, v7
	v_cndmask_b32_e32 v11, 0, v11, vcc_lo
	v_cmp_nlt_f32_e32 vcc_lo, 0x42b17218, v8
	v_cndmask_b32_e64 v7, 0, v7, s5
	v_cndmask_b32_e64 v9, v9, v16, s5
	v_cndmask_b32_e32 v8, 0x7f800000, v11, vcc_lo
	v_add_f32_e32 v11, v9, v8
	v_cndmask_b32_e64 v8, 0, v8, s6
	v_cndmask_b32_e64 v9, v9, v11, s6
	ds_bpermute_b32 v10, v10, v9
	s_waitcnt lgkmcnt(0)
	v_add_f32_e32 v9, v9, v10
	ds_bpermute_b32 v10, v12, v9
	s_waitcnt lgkmcnt(0)
	v_add_f32_e32 v9, v9, v10
	;; [unrolled: 3-line block ×5, first 2 shown]
	v_div_scale_f32 v10, null, v9, v9, 1.0
	v_div_scale_f32 v13, vcc_lo, 1.0, v9, 1.0
	v_rcp_f32_e32 v11, v10
	v_fma_f32 v12, -v10, v11, 1.0
	v_fmac_f32_e32 v11, v12, v11
	v_mul_f32_e32 v12, v13, v11
	v_fma_f32 v14, -v10, v12, v13
	v_fmac_f32_e32 v12, v14, v11
	v_fma_f32 v10, -v10, v12, v13
	v_div_fmas_f32 v10, v10, v11, v12
	v_div_fixup_f32 v9, v10, v9, 1.0
	v_mul_f32_e32 v10, v1, v9
	v_mul_f32_e32 v11, v2, v9
	;; [unrolled: 1-line block ×8, first 2 shown]
	v_cndmask_b32_e64 v1, v1, v10, s7
	v_cndmask_b32_e64 v2, v2, v11, s0
	;; [unrolled: 1-line block ×8, first 2 shown]
.LBB8_41:
	s_waitcnt vmcnt(7)
	v_mul_lo_u32 v9, v17, s17
	s_mov_b32 s0, exec_lo
	s_waitcnt vmcnt(6)
	v_ashrrev_i32_e32 v10, 31, v9
	v_lshlrev_b64 v[9:10], 2, v[9:10]
	v_add_co_u32 v9, vcc_lo, s10, v9
	v_add_co_ci_u32_e64 v10, null, s11, v10, vcc_lo
	v_cmpx_gt_i32_e64 s17, v0
	s_cbranch_execnz .LBB8_51
; %bb.42:
	s_or_b32 exec_lo, exec_lo, s0
	s_mov_b32 s0, exec_lo
	v_cmpx_gt_i32_e64 s17, v27
	s_cbranch_execnz .LBB8_52
.LBB8_43:
	s_or_b32 exec_lo, exec_lo, s0
	s_mov_b32 s0, exec_lo
	v_cmpx_gt_i32_e64 s17, v26
	s_cbranch_execnz .LBB8_53
.LBB8_44:
	s_or_b32 exec_lo, exec_lo, s0
	s_mov_b32 s0, exec_lo
	v_cmpx_gt_i32_e64 s17, v25
	s_cbranch_execnz .LBB8_54
.LBB8_45:
	s_or_b32 exec_lo, exec_lo, s0
	s_mov_b32 s0, exec_lo
	v_cmpx_gt_i32_e64 s17, v24
	s_cbranch_execnz .LBB8_55
.LBB8_46:
	s_or_b32 exec_lo, exec_lo, s0
	s_mov_b32 s0, exec_lo
	v_cmpx_gt_i32_e64 s17, v23
	s_cbranch_execnz .LBB8_56
.LBB8_47:
	s_or_b32 exec_lo, exec_lo, s0
	s_mov_b32 s0, exec_lo
	v_cmpx_gt_i32_e64 s17, v22
	s_cbranch_execnz .LBB8_57
.LBB8_48:
	s_or_b32 exec_lo, exec_lo, s0
	v_cmp_gt_i32_e32 vcc_lo, s17, v21
	s_and_b32 exec_lo, exec_lo, vcc_lo
	s_cbranch_execz .LBB8_50
.LBB8_49:
	v_add_co_u32 v0, vcc_lo, v9, v20
	v_add_co_ci_u32_e64 v1, null, 0, v10, vcc_lo
	v_mul_f32_e32 v2, s19, v8
	global_store_dword v[0:1], v2, off offset:896
.LBB8_50:
	s_endpgm
.LBB8_51:
	s_waitcnt vmcnt(5)
	v_add_co_u32 v11, vcc_lo, v9, v20
	s_waitcnt vmcnt(4)
	v_add_co_ci_u32_e64 v12, null, 0, v10, vcc_lo
	v_mul_f32_e32 v0, s19, v1
	global_store_dword v[11:12], v0, off
	s_or_b32 exec_lo, exec_lo, s0
	s_mov_b32 s0, exec_lo
	v_cmpx_gt_i32_e64 s17, v27
	s_cbranch_execz .LBB8_43
.LBB8_52:
	v_add_co_u32 v0, vcc_lo, v9, v20
	v_add_co_ci_u32_e64 v1, null, 0, v10, vcc_lo
	v_mul_f32_e32 v2, s19, v2
	global_store_dword v[0:1], v2, off offset:128
	s_or_b32 exec_lo, exec_lo, s0
	s_mov_b32 s0, exec_lo
	v_cmpx_gt_i32_e64 s17, v26
	s_cbranch_execz .LBB8_44
.LBB8_53:
	v_add_co_u32 v0, vcc_lo, v9, v20
	v_add_co_ci_u32_e64 v1, null, 0, v10, vcc_lo
	v_mul_f32_e32 v2, s19, v3
	global_store_dword v[0:1], v2, off offset:256
	s_or_b32 exec_lo, exec_lo, s0
	s_mov_b32 s0, exec_lo
	v_cmpx_gt_i32_e64 s17, v25
	s_cbranch_execz .LBB8_45
.LBB8_54:
	v_add_co_u32 v0, vcc_lo, v9, v20
	v_add_co_ci_u32_e64 v1, null, 0, v10, vcc_lo
	v_mul_f32_e32 v2, s19, v4
	global_store_dword v[0:1], v2, off offset:384
	s_or_b32 exec_lo, exec_lo, s0
	s_mov_b32 s0, exec_lo
	v_cmpx_gt_i32_e64 s17, v24
	s_cbranch_execz .LBB8_46
.LBB8_55:
	v_add_co_u32 v0, vcc_lo, v9, v20
	v_add_co_ci_u32_e64 v1, null, 0, v10, vcc_lo
	v_mul_f32_e32 v2, s19, v5
	global_store_dword v[0:1], v2, off offset:512
	s_or_b32 exec_lo, exec_lo, s0
	s_mov_b32 s0, exec_lo
	v_cmpx_gt_i32_e64 s17, v23
	s_cbranch_execz .LBB8_47
.LBB8_56:
	v_add_co_u32 v0, vcc_lo, v9, v20
	v_add_co_ci_u32_e64 v1, null, 0, v10, vcc_lo
	v_mul_f32_e32 v2, s19, v6
	global_store_dword v[0:1], v2, off offset:640
	s_or_b32 exec_lo, exec_lo, s0
	s_mov_b32 s0, exec_lo
	v_cmpx_gt_i32_e64 s17, v22
	s_cbranch_execz .LBB8_48
.LBB8_57:
	v_add_co_u32 v0, vcc_lo, v9, v20
	v_add_co_ci_u32_e64 v1, null, 0, v10, vcc_lo
	v_mul_f32_e32 v2, s19, v7
	global_store_dword v[0:1], v2, off offset:768
	s_or_b32 exec_lo, exec_lo, s0
	v_cmp_gt_i32_e32 vcc_lo, s17, v21
	s_and_b32 exec_lo, exec_lo, vcc_lo
	s_cbranch_execnz .LBB8_49
	s_branch .LBB8_50
	.section	.rodata,"a",@progbits
	.p2align	6, 0x0
	.amdhsa_kernel _Z13topk_moe_cudaILi256ELb1EEvPKfPfPiS2_iiff15topk_moe_config
		.amdhsa_group_segment_fixed_size 0
		.amdhsa_private_segment_fixed_size 0
		.amdhsa_kernarg_size 312
		.amdhsa_user_sgpr_count 6
		.amdhsa_user_sgpr_private_segment_buffer 1
		.amdhsa_user_sgpr_dispatch_ptr 0
		.amdhsa_user_sgpr_queue_ptr 0
		.amdhsa_user_sgpr_kernarg_segment_ptr 1
		.amdhsa_user_sgpr_dispatch_id 0
		.amdhsa_user_sgpr_flat_scratch_init 0
		.amdhsa_user_sgpr_private_segment_size 0
		.amdhsa_wavefront_size32 1
		.amdhsa_uses_dynamic_stack 0
		.amdhsa_system_sgpr_private_segment_wavefront_offset 0
		.amdhsa_system_sgpr_workgroup_id_x 1
		.amdhsa_system_sgpr_workgroup_id_y 0
		.amdhsa_system_sgpr_workgroup_id_z 0
		.amdhsa_system_sgpr_workgroup_info 0
		.amdhsa_system_vgpr_workitem_id 1
		.amdhsa_next_free_vgpr 52
		.amdhsa_next_free_sgpr 20
		.amdhsa_reserve_vcc 1
		.amdhsa_reserve_flat_scratch 0
		.amdhsa_float_round_mode_32 0
		.amdhsa_float_round_mode_16_64 0
		.amdhsa_float_denorm_mode_32 3
		.amdhsa_float_denorm_mode_16_64 3
		.amdhsa_dx10_clamp 1
		.amdhsa_ieee_mode 1
		.amdhsa_fp16_overflow 0
		.amdhsa_workgroup_processor_mode 1
		.amdhsa_memory_ordered 1
		.amdhsa_forward_progress 1
		.amdhsa_shared_vgpr_count 0
		.amdhsa_exception_fp_ieee_invalid_op 0
		.amdhsa_exception_fp_denorm_src 0
		.amdhsa_exception_fp_ieee_div_zero 0
		.amdhsa_exception_fp_ieee_overflow 0
		.amdhsa_exception_fp_ieee_underflow 0
		.amdhsa_exception_fp_ieee_inexact 0
		.amdhsa_exception_int_div_zero 0
	.end_amdhsa_kernel
	.section	.text._Z13topk_moe_cudaILi256ELb1EEvPKfPfPiS2_iiff15topk_moe_config,"axG",@progbits,_Z13topk_moe_cudaILi256ELb1EEvPKfPfPiS2_iiff15topk_moe_config,comdat
.Lfunc_end8:
	.size	_Z13topk_moe_cudaILi256ELb1EEvPKfPfPiS2_iiff15topk_moe_config, .Lfunc_end8-_Z13topk_moe_cudaILi256ELb1EEvPKfPfPiS2_iiff15topk_moe_config
                                        ; -- End function
	.set _Z13topk_moe_cudaILi256ELb1EEvPKfPfPiS2_iiff15topk_moe_config.num_vgpr, 52
	.set _Z13topk_moe_cudaILi256ELb1EEvPKfPfPiS2_iiff15topk_moe_config.num_agpr, 0
	.set _Z13topk_moe_cudaILi256ELb1EEvPKfPfPiS2_iiff15topk_moe_config.numbered_sgpr, 20
	.set _Z13topk_moe_cudaILi256ELb1EEvPKfPfPiS2_iiff15topk_moe_config.num_named_barrier, 0
	.set _Z13topk_moe_cudaILi256ELb1EEvPKfPfPiS2_iiff15topk_moe_config.private_seg_size, 0
	.set _Z13topk_moe_cudaILi256ELb1EEvPKfPfPiS2_iiff15topk_moe_config.uses_vcc, 1
	.set _Z13topk_moe_cudaILi256ELb1EEvPKfPfPiS2_iiff15topk_moe_config.uses_flat_scratch, 0
	.set _Z13topk_moe_cudaILi256ELb1EEvPKfPfPiS2_iiff15topk_moe_config.has_dyn_sized_stack, 0
	.set _Z13topk_moe_cudaILi256ELb1EEvPKfPfPiS2_iiff15topk_moe_config.has_recursion, 0
	.set _Z13topk_moe_cudaILi256ELb1EEvPKfPfPiS2_iiff15topk_moe_config.has_indirect_call, 0
	.section	.AMDGPU.csdata,"",@progbits
; Kernel info:
; codeLenInByte = 6900
; TotalNumSgprs: 22
; NumVgprs: 52
; ScratchSize: 0
; MemoryBound: 0
; FloatMode: 240
; IeeeMode: 1
; LDSByteSize: 0 bytes/workgroup (compile time only)
; SGPRBlocks: 0
; VGPRBlocks: 6
; NumSGPRsForWavesPerEU: 22
; NumVGPRsForWavesPerEU: 52
; Occupancy: 16
; WaveLimiterHint : 1
; COMPUTE_PGM_RSRC2:SCRATCH_EN: 0
; COMPUTE_PGM_RSRC2:USER_SGPR: 6
; COMPUTE_PGM_RSRC2:TRAP_HANDLER: 0
; COMPUTE_PGM_RSRC2:TGID_X_EN: 1
; COMPUTE_PGM_RSRC2:TGID_Y_EN: 0
; COMPUTE_PGM_RSRC2:TGID_Z_EN: 0
; COMPUTE_PGM_RSRC2:TIDIG_COMP_CNT: 1
	.section	.text._Z13topk_moe_cudaILi512ELb1EEvPKfPfPiS2_iiff15topk_moe_config,"axG",@progbits,_Z13topk_moe_cudaILi512ELb1EEvPKfPfPiS2_iiff15topk_moe_config,comdat
	.protected	_Z13topk_moe_cudaILi512ELb1EEvPKfPfPiS2_iiff15topk_moe_config ; -- Begin function _Z13topk_moe_cudaILi512ELb1EEvPKfPfPiS2_iiff15topk_moe_config
	.globl	_Z13topk_moe_cudaILi512ELb1EEvPKfPfPiS2_iiff15topk_moe_config
	.p2align	8
	.type	_Z13topk_moe_cudaILi512ELb1EEvPKfPfPiS2_iiff15topk_moe_config,@function
_Z13topk_moe_cudaILi512ELb1EEvPKfPfPiS2_iiff15topk_moe_config: ; @_Z13topk_moe_cudaILi512ELb1EEvPKfPfPiS2_iiff15topk_moe_config
; %bb.0:
	s_clause 0x1
	s_load_dword s0, s[4:5], 0x44
	s_load_dwordx4 s[24:27], s[4:5], 0x20
	s_waitcnt lgkmcnt(0)
	s_lshr_b32 s0, s0, 16
	v_mad_u64_u32 v[34:35], null, s6, s0, v[1:2]
	s_mov_b32 s0, exec_lo
	v_cmpx_gt_i32_e64 s24, v34
	s_cbranch_execz .LBB9_59
; %bb.1:
	s_load_dwordx8 s[16:23], s[4:5], 0x0
	v_lshlrev_b32_e32 v1, 9, v34
	v_lshlrev_b32_e32 v37, 2, v0
	v_mov_b32_e32 v5, 0
	s_load_dword s0, s[4:5], 0x30
	v_ashrrev_i32_e32 v2, 31, v1
	v_lshlrev_b64 v[1:2], 2, v[1:2]
	s_waitcnt lgkmcnt(0)
	v_add_co_u32 v3, vcc_lo, s16, v1
	v_add_co_ci_u32_e64 v4, null, s17, v2, vcc_lo
	v_add_co_u32 v20, vcc_lo, v3, v37
	v_add_co_ci_u32_e64 v21, null, 0, v4, vcc_lo
	global_load_ushort v19, v5, s[4:5] offset:48
	s_clause 0xf
	global_load_dword v18, v[20:21], off
	global_load_dword v17, v[20:21], off offset:128
	global_load_dword v16, v[20:21], off offset:256
	;; [unrolled: 1-line block ×15, first 2 shown]
	s_waitcnt vmcnt(16)
	v_readfirstlane_b32 s1, v19
	s_and_b32 s4, 0xffff, s1
	s_bitcmp1_b32 s0, 16
	s_cselect_b32 s16, -1, 0
	s_and_b32 vcc_lo, exec_lo, s16
	s_cbranch_vccnz .LBB9_7
; %bb.2:
	v_and_b32_e32 v19, 1, v19
	s_mov_b32 s0, 0
	v_cmp_eq_u32_e32 vcc_lo, 0, v19
	s_cbranch_vccz .LBB9_4
; %bb.3:
	s_waitcnt vmcnt(14)
	v_max3_f32 v19, v18, 0xff800000, v17
	v_mbcnt_lo_u32_b32 v23, -1, 0
	s_waitcnt vmcnt(12)
	v_max3_f32 v19, v19, v16, v15
	v_xor_b32_e32 v20, 16, v23
	v_xor_b32_e32 v22, 8, v23
	s_waitcnt vmcnt(10)
	v_max3_f32 v19, v19, v14, v13
	v_cmp_gt_i32_e32 vcc_lo, 32, v20
	s_waitcnt vmcnt(8)
	v_max3_f32 v19, v19, v12, v11
	v_cndmask_b32_e32 v20, v23, v20, vcc_lo
	v_cmp_gt_i32_e32 vcc_lo, 32, v22
	s_waitcnt vmcnt(6)
	v_max3_f32 v19, v19, v10, v9
	v_cndmask_b32_e32 v22, v23, v22, vcc_lo
	s_waitcnt vmcnt(4)
	v_max3_f32 v19, v19, v8, v7
	s_waitcnt vmcnt(2)
	v_max3_f32 v21, v19, v6, v5
	v_lshlrev_b32_e32 v19, 2, v20
	s_waitcnt vmcnt(0)
	v_max3_f32 v21, v21, v4, v3
	ds_bpermute_b32 v20, v19, v21
	s_waitcnt lgkmcnt(0)
	v_max_f32_e32 v24, v20, v20
	v_lshlrev_b32_e32 v20, 2, v22
	v_max_f32_e32 v22, v21, v24
	v_xor_b32_e32 v24, 4, v23
	ds_bpermute_b32 v21, v20, v22
	v_cmp_gt_i32_e32 vcc_lo, 32, v24
	v_cndmask_b32_e32 v24, v23, v24, vcc_lo
	s_waitcnt lgkmcnt(0)
	v_max_f32_e32 v25, v21, v21
	v_lshlrev_b32_e32 v21, 2, v24
	v_max_f32_e32 v24, v22, v25
	v_xor_b32_e32 v25, 2, v23
	ds_bpermute_b32 v22, v21, v24
	v_cmp_gt_i32_e32 vcc_lo, 32, v25
	v_cndmask_b32_e32 v25, v23, v25, vcc_lo
	;; [unrolled: 8-line block ×3, first 2 shown]
	v_lshlrev_b32_e32 v23, 2, v23
	s_waitcnt lgkmcnt(0)
	v_max_f32_e32 v25, v25, v25
	v_max_f32_e32 v24, v24, v25
	ds_bpermute_b32 v25, v23, v24
	s_waitcnt lgkmcnt(0)
	v_max_f32_e32 v25, v25, v25
	v_max_f32_e32 v24, v24, v25
	v_sub_f32_e32 v25, v18, v24
	v_sub_f32_e32 v26, v17, v24
	;; [unrolled: 1-line block ×5, first 2 shown]
	v_mul_f32_e32 v42, 0x3fb8aa3b, v25
	v_mul_f32_e32 v43, 0x3fb8aa3b, v26
	;; [unrolled: 1-line block ×4, first 2 shown]
	v_cmp_ngt_f32_e32 vcc_lo, 0xc2ce8ed0, v25
	v_fma_f32 v58, 0x3fb8aa3b, v25, -v42
	v_rndne_f32_e32 v59, v42
	v_fma_f32 v60, 0x3fb8aa3b, v26, -v43
	v_rndne_f32_e32 v61, v43
	v_fma_f32 v62, 0x3fb8aa3b, v27, -v44
	v_fmac_f32_e32 v58, 0x32a5705f, v25
	v_sub_f32_e32 v42, v42, v59
	v_rndne_f32_e32 v63, v44
	v_fmac_f32_e32 v60, 0x32a5705f, v26
	v_sub_f32_e32 v43, v43, v61
	v_fmac_f32_e32 v62, 0x32a5705f, v27
	v_add_f32_e32 v42, v42, v58
	v_sub_f32_e32 v44, v44, v63
	v_cvt_i32_f32_e32 v59, v59
	v_add_f32_e32 v43, v43, v60
	v_fma_f32 v64, 0x3fb8aa3b, v28, -v45
	v_exp_f32_e32 v42, v42
	v_add_f32_e32 v44, v44, v62
	v_rndne_f32_e32 v65, v45
	v_exp_f32_e32 v43, v43
	v_cvt_i32_f32_e32 v61, v61
	v_mul_f32_e32 v46, 0x3fb8aa3b, v29
	v_exp_f32_e32 v44, v44
	v_fmac_f32_e32 v64, 0x32a5705f, v28
	v_sub_f32_e32 v45, v45, v65
	v_cvt_i32_f32_e32 v63, v63
	v_ldexp_f32 v42, v42, v59
	v_sub_f32_e32 v30, v13, v24
	v_fma_f32 v66, 0x3fb8aa3b, v29, -v46
	v_ldexp_f32 v43, v43, v61
	v_rndne_f32_e32 v67, v46
	v_cndmask_b32_e32 v42, 0, v42, vcc_lo
	v_cmp_ngt_f32_e32 vcc_lo, 0xc2ce8ed0, v26
	v_add_f32_e32 v45, v45, v64
	v_ldexp_f32 v44, v44, v63
	v_mul_f32_e32 v47, 0x3fb8aa3b, v30
	v_fmac_f32_e32 v66, 0x32a5705f, v29
	v_cndmask_b32_e32 v43, 0, v43, vcc_lo
	v_cmp_ngt_f32_e32 vcc_lo, 0xc2ce8ed0, v27
	v_sub_f32_e32 v46, v46, v67
	v_exp_f32_e32 v45, v45
	v_sub_f32_e32 v31, v12, v24
	v_fma_f32 v68, 0x3fb8aa3b, v30, -v47
	v_cndmask_b32_e32 v44, 0, v44, vcc_lo
	v_cmp_nlt_f32_e32 vcc_lo, 0x42b17218, v25
	v_rndne_f32_e32 v69, v47
	v_cvt_i32_f32_e32 v65, v65
	v_add_f32_e32 v46, v46, v66
	v_mul_f32_e32 v48, 0x3fb8aa3b, v31
	v_cndmask_b32_e32 v25, 0x7f800000, v42, vcc_lo
	v_cmp_nlt_f32_e32 vcc_lo, 0x42b17218, v26
	v_fmac_f32_e32 v68, 0x32a5705f, v30
	v_sub_f32_e32 v47, v47, v69
	v_exp_f32_e32 v46, v46
	v_ldexp_f32 v45, v45, v65
	v_cndmask_b32_e32 v26, 0x7f800000, v43, vcc_lo
	v_cmp_ngt_f32_e32 vcc_lo, 0xc2ce8ed0, v28
	v_sub_f32_e32 v32, v11, v24
	v_fma_f32 v70, 0x3fb8aa3b, v31, -v48
	v_rndne_f32_e32 v71, v48
	v_cvt_i32_f32_e32 v67, v67
	v_add_f32_e32 v47, v47, v68
	v_cndmask_b32_e32 v42, 0, v45, vcc_lo
	v_cmp_nlt_f32_e32 vcc_lo, 0x42b17218, v27
	v_mul_f32_e32 v49, 0x3fb8aa3b, v32
	v_fmac_f32_e32 v70, 0x32a5705f, v31
	v_sub_f32_e32 v48, v48, v71
	v_exp_f32_e32 v47, v47
	v_ldexp_f32 v46, v46, v67
	v_cndmask_b32_e32 v27, 0x7f800000, v44, vcc_lo
	v_cmp_ngt_f32_e32 vcc_lo, 0xc2ce8ed0, v29
	v_sub_f32_e32 v33, v10, v24
	v_fma_f32 v72, 0x3fb8aa3b, v32, -v49
	v_rndne_f32_e32 v73, v49
	v_cvt_i32_f32_e32 v69, v69
	v_add_f32_e32 v48, v48, v70
	v_cndmask_b32_e32 v44, 0, v46, vcc_lo
	v_cmp_nlt_f32_e32 vcc_lo, 0x42b17218, v28
	v_mul_f32_e32 v50, 0x3fb8aa3b, v33
	v_fmac_f32_e32 v72, 0x32a5705f, v32
	v_sub_f32_e32 v49, v49, v73
	v_exp_f32_e32 v48, v48
	v_ldexp_f32 v47, v47, v69
	v_add_f32_e32 v43, v25, v26
	v_cndmask_b32_e32 v28, 0x7f800000, v42, vcc_lo
	v_cmp_ngt_f32_e32 vcc_lo, 0xc2ce8ed0, v30
	v_sub_f32_e32 v35, v9, v24
	v_fma_f32 v74, 0x3fb8aa3b, v33, -v50
	v_rndne_f32_e32 v75, v50
	v_cvt_i32_f32_e32 v71, v71
	v_add_f32_e32 v49, v49, v72
	v_add_f32_e32 v42, v27, v43
	v_cndmask_b32_e32 v43, 0, v47, vcc_lo
	v_cmp_nlt_f32_e32 vcc_lo, 0x42b17218, v29
	v_mul_f32_e32 v51, 0x3fb8aa3b, v35
	v_fmac_f32_e32 v74, 0x32a5705f, v33
	v_sub_f32_e32 v50, v50, v75
	v_exp_f32_e32 v49, v49
	v_ldexp_f32 v48, v48, v71
	v_cndmask_b32_e32 v29, 0x7f800000, v44, vcc_lo
	v_cmp_ngt_f32_e32 vcc_lo, 0xc2ce8ed0, v31
	v_sub_f32_e32 v36, v8, v24
	v_fma_f32 v76, 0x3fb8aa3b, v35, -v51
	v_rndne_f32_e32 v77, v51
	v_cvt_i32_f32_e32 v73, v73
	v_add_f32_e32 v50, v50, v74
	v_cndmask_b32_e32 v44, 0, v48, vcc_lo
	v_cmp_nlt_f32_e32 vcc_lo, 0x42b17218, v30
	v_mul_f32_e32 v52, 0x3fb8aa3b, v36
	v_fmac_f32_e32 v76, 0x32a5705f, v35
	v_sub_f32_e32 v51, v51, v77
	v_exp_f32_e32 v50, v50
	v_ldexp_f32 v49, v49, v73
	v_cndmask_b32_e32 v30, 0x7f800000, v43, vcc_lo
	v_cmp_ngt_f32_e32 vcc_lo, 0xc2ce8ed0, v32
	v_sub_f32_e32 v38, v7, v24
	v_fma_f32 v78, 0x3fb8aa3b, v36, -v52
	v_rndne_f32_e32 v79, v52
	v_cvt_i32_f32_e32 v75, v75
	;; [unrolled: 14-line block ×5, first 2 shown]
	v_add_f32_e32 v54, v54, v82
	v_cndmask_b32_e32 v44, 0, v52, vcc_lo
	v_cmp_nlt_f32_e32 vcc_lo, 0x42b17218, v35
	v_mul_f32_e32 v56, 0x3fb8aa3b, v41
	v_fmac_f32_e32 v84, 0x32a5705f, v40
	v_sub_f32_e32 v55, v55, v85
	v_exp_f32_e32 v54, v54
	v_ldexp_f32 v53, v53, v81
	v_add_f32_e32 v42, v28, v42
	v_cndmask_b32_e32 v35, 0x7f800000, v43, vcc_lo
	v_cmp_ngt_f32_e32 vcc_lo, 0xc2ce8ed0, v38
	v_sub_f32_e32 v24, v3, v24
	v_fma_f32 v86, 0x3fb8aa3b, v41, -v56
	v_rndne_f32_e32 v87, v56
	v_cvt_i32_f32_e32 v83, v83
	v_add_f32_e32 v55, v55, v84
	v_add_f32_e32 v42, v29, v42
	v_cndmask_b32_e32 v43, 0, v53, vcc_lo
	v_cmp_nlt_f32_e32 vcc_lo, 0x42b17218, v36
	v_mul_f32_e32 v57, 0x3fb8aa3b, v24
	v_fmac_f32_e32 v86, 0x32a5705f, v41
	v_sub_f32_e32 v56, v56, v87
	v_exp_f32_e32 v55, v55
	v_ldexp_f32 v54, v54, v83
	v_add_f32_e32 v42, v30, v42
	v_cndmask_b32_e32 v36, 0x7f800000, v44, vcc_lo
	v_cmp_ngt_f32_e32 vcc_lo, 0xc2ce8ed0, v39
	v_fma_f32 v88, 0x3fb8aa3b, v24, -v57
	v_rndne_f32_e32 v89, v57
	v_cvt_i32_f32_e32 v85, v85
	v_add_f32_e32 v56, v56, v86
	v_add_f32_e32 v42, v31, v42
	v_cndmask_b32_e32 v44, 0, v54, vcc_lo
	v_cmp_nlt_f32_e32 vcc_lo, 0x42b17218, v38
	v_fmac_f32_e32 v88, 0x32a5705f, v24
	v_sub_f32_e32 v57, v57, v89
	v_exp_f32_e32 v56, v56
	v_ldexp_f32 v55, v55, v85
	v_add_f32_e32 v42, v32, v42
	v_cndmask_b32_e32 v38, 0x7f800000, v43, vcc_lo
	v_cmp_ngt_f32_e32 vcc_lo, 0xc2ce8ed0, v40
	v_cvt_i32_f32_e32 v87, v87
	v_add_f32_e32 v57, v57, v88
	v_add_f32_e32 v42, v33, v42
	v_cvt_i32_f32_e32 v89, v89
	v_cndmask_b32_e32 v43, 0, v55, vcc_lo
	v_cmp_nlt_f32_e32 vcc_lo, 0x42b17218, v39
	v_exp_f32_e32 v57, v57
	v_ldexp_f32 v56, v56, v87
	v_add_f32_e32 v42, v35, v42
	v_cndmask_b32_e32 v39, 0x7f800000, v44, vcc_lo
	v_cmp_ngt_f32_e32 vcc_lo, 0xc2ce8ed0, v41
	v_add_f32_e32 v42, v36, v42
	v_cndmask_b32_e32 v44, 0, v56, vcc_lo
	v_cmp_nlt_f32_e32 vcc_lo, 0x42b17218, v40
	v_ldexp_f32 v57, v57, v89
	v_add_f32_e32 v42, v38, v42
	v_cndmask_b32_e32 v40, 0x7f800000, v43, vcc_lo
	v_cmp_ngt_f32_e32 vcc_lo, 0xc2ce8ed0, v24
	v_add_f32_e32 v42, v39, v42
	v_cndmask_b32_e32 v43, 0, v57, vcc_lo
	v_cmp_nlt_f32_e32 vcc_lo, 0x42b17218, v41
	v_add_f32_e32 v42, v40, v42
	v_cndmask_b32_e32 v41, 0x7f800000, v44, vcc_lo
	v_cmp_nlt_f32_e32 vcc_lo, 0x42b17218, v24
	v_add_f32_e32 v24, v41, v42
	v_cndmask_b32_e32 v43, 0x7f800000, v43, vcc_lo
	v_add_f32_e32 v24, v43, v24
	ds_bpermute_b32 v19, v19, v24
	s_waitcnt lgkmcnt(0)
	v_add_f32_e32 v19, v24, v19
	ds_bpermute_b32 v20, v20, v19
	s_waitcnt lgkmcnt(0)
	;; [unrolled: 3-line block ×5, first 2 shown]
	v_add_f32_e32 v19, v19, v20
	v_div_scale_f32 v20, null, v19, v19, 1.0
	v_div_scale_f32 v23, vcc_lo, 1.0, v19, 1.0
	v_rcp_f32_e32 v21, v20
	v_fma_f32 v22, -v20, v21, 1.0
	v_fmac_f32_e32 v21, v22, v21
	v_mul_f32_e32 v22, v23, v21
	v_fma_f32 v24, -v20, v22, v23
	v_fmac_f32_e32 v22, v24, v21
	v_fma_f32 v20, -v20, v22, v23
	v_div_fmas_f32 v20, v20, v21, v22
	v_div_fixup_f32 v42, v20, v19, 1.0
	v_mul_f32_e32 v19, v25, v42
	v_mul_f32_e32 v20, v26, v42
	;; [unrolled: 1-line block ×16, first 2 shown]
	s_andn2_b32 vcc_lo, exec_lo, s0
	s_cbranch_vccz .LBB9_5
	s_branch .LBB9_6
.LBB9_4:
                                        ; implicit-def: $vgpr30
                                        ; implicit-def: $vgpr31
                                        ; implicit-def: $vgpr32
                                        ; implicit-def: $vgpr33
                                        ; implicit-def: $vgpr35
                                        ; implicit-def: $vgpr27
                                        ; implicit-def: $vgpr28
                                        ; implicit-def: $vgpr29
                                        ; implicit-def: $vgpr26
                                        ; implicit-def: $vgpr25
                                        ; implicit-def: $vgpr24
                                        ; implicit-def: $vgpr22
                                        ; implicit-def: $vgpr23
                                        ; implicit-def: $vgpr21
                                        ; implicit-def: $vgpr20
                                        ; implicit-def: $vgpr19
.LBB9_5:
	s_waitcnt vmcnt(15)
	v_mul_f32_e32 v19, 0xbfb8aa3b, v18
	s_waitcnt vmcnt(14)
	v_mul_f32_e32 v20, 0xbfb8aa3b, v17
	;; [unrolled: 2-line block ×3, first 2 shown]
	v_cmp_nlt_f32_e32 vcc_lo, 0x42ce8ed0, v18
	s_waitcnt vmcnt(12)
	v_mul_f32_e32 v26, 0xbfb8aa3b, v15
	v_rndne_f32_e32 v21, v19
	v_fma_f32 v22, 0xbfb8aa3b, v18, -v19
	v_rndne_f32_e32 v24, v20
	v_fma_f32 v25, 0xbfb8aa3b, v17, -v20
	v_fma_f32 v28, 0xbfb8aa3b, v16, -v23
	v_sub_f32_e32 v19, v19, v21
	v_fmac_f32_e32 v22, 0xb2a5705f, v18
	v_sub_f32_e32 v20, v20, v24
	v_fmac_f32_e32 v25, 0xb2a5705f, v17
	v_cvt_i32_f32_e32 v21, v21
	v_cvt_i32_f32_e32 v24, v24
	v_add_f32_e32 v19, v19, v22
	v_rndne_f32_e32 v22, v23
	v_add_f32_e32 v20, v20, v25
	v_rndne_f32_e32 v25, v26
	v_fma_f32 v29, 0xbfb8aa3b, v15, -v26
	v_exp_f32_e32 v19, v19
	v_sub_f32_e32 v23, v23, v22
	v_exp_f32_e32 v20, v20
	v_fmac_f32_e32 v28, 0xb2a5705f, v16
	v_sub_f32_e32 v26, v26, v25
	v_fmac_f32_e32 v29, 0xb2a5705f, v15
	s_waitcnt vmcnt(11)
	v_mul_f32_e32 v27, 0xbfb8aa3b, v14
	s_waitcnt vmcnt(10)
	v_mul_f32_e32 v32, 0xbfb8aa3b, v13
	v_cmp_ngt_f32_e64 s1, 0xc2b17218, v15
	v_ldexp_f32 v19, v19, v21
	v_add_f32_e32 v21, v23, v28
	v_ldexp_f32 v20, v20, v24
	v_add_f32_e32 v23, v26, v29
	v_rndne_f32_e32 v30, v27
	v_cndmask_b32_e32 v19, 0, v19, vcc_lo
	v_cmp_nlt_f32_e32 vcc_lo, 0x42ce8ed0, v17
	v_fma_f32 v31, 0xbfb8aa3b, v14, -v27
	v_sub_f32_e32 v24, v27, v30
	v_cndmask_b32_e32 v20, 0, v20, vcc_lo
	v_cmp_ngt_f32_e32 vcc_lo, 0xc2b17218, v18
	v_fmac_f32_e32 v31, 0xb2a5705f, v14
	v_cndmask_b32_e32 v18, 0x7f800000, v19, vcc_lo
	v_cmp_ngt_f32_e32 vcc_lo, 0xc2b17218, v17
	v_exp_f32_e32 v19, v21
	v_cvt_i32_f32_e32 v21, v25
	v_add_f32_e32 v18, 1.0, v18
	v_cndmask_b32_e32 v17, 0x7f800000, v20, vcc_lo
	v_cvt_i32_f32_e32 v20, v22
	v_exp_f32_e32 v22, v23
	v_cmp_nlt_f32_e32 vcc_lo, 0x42ce8ed0, v16
	v_div_scale_f32 v23, null, v18, v18, 1.0
	v_add_f32_e32 v17, 1.0, v17
	v_ldexp_f32 v19, v19, v20
	v_rcp_f32_e32 v25, v23
	v_div_scale_f32 v20, null, v17, v17, 1.0
	v_cndmask_b32_e32 v19, 0, v19, vcc_lo
	v_ldexp_f32 v21, v22, v21
	v_cmp_ngt_f32_e32 vcc_lo, 0xc2b17218, v16
	v_rcp_f32_e32 v22, v20
	v_cndmask_b32_e32 v16, 0x7f800000, v19, vcc_lo
	v_add_f32_e32 v19, v24, v31
	v_cmp_nlt_f32_e32 vcc_lo, 0x42ce8ed0, v15
	v_fma_f32 v24, -v23, v25, 1.0
	v_add_f32_e32 v16, 1.0, v16
	v_fma_f32 v27, -v20, v22, 1.0
	v_cndmask_b32_e32 v21, 0, v21, vcc_lo
	v_div_scale_f32 v26, vcc_lo, 1.0, v18, 1.0
	v_fmac_f32_e32 v25, v24, v25
	v_div_scale_f32 v24, s0, 1.0, v17, 1.0
	v_fmac_f32_e32 v22, v27, v22
	v_exp_f32_e32 v33, v19
	v_mul_f32_e32 v27, v26, v25
	v_div_scale_f32 v28, null, v16, v16, 1.0
	v_mul_f32_e32 v29, v24, v22
	v_cndmask_b32_e64 v15, 0x7f800000, v21, s1
	v_fma_f32 v31, -v23, v27, v26
	v_rcp_f32_e32 v21, v28
	v_fma_f32 v19, -v20, v29, v24
	v_add_f32_e32 v15, 1.0, v15
	v_fmac_f32_e32 v27, v31, v25
	v_div_scale_f32 v31, s1, 1.0, v16, 1.0
	v_fmac_f32_e32 v29, v19, v22
	v_fma_f32 v19, -v23, v27, v26
	v_cvt_i32_f32_e32 v23, v30
	v_rndne_f32_e32 v26, v32
	v_fma_f32 v30, 0xbfb8aa3b, v13, -v32
	v_fma_f32 v20, -v20, v29, v24
	v_div_fmas_f32 v19, v19, v25, v27
	v_cmp_nlt_f32_e32 vcc_lo, 0x42ce8ed0, v14
	v_fma_f32 v35, -v28, v21, 1.0
	v_fmac_f32_e32 v30, 0xb2a5705f, v13
	v_div_scale_f32 v25, null, v15, v15, 1.0
	v_div_fixup_f32 v19, v19, v18, 1.0
	v_ldexp_f32 v18, v33, v23
	v_sub_f32_e32 v23, v32, v26
	v_fmac_f32_e32 v21, v35, v21
	v_cvt_i32_f32_e32 v26, v26
	v_rcp_f32_e32 v27, v25
	v_cndmask_b32_e32 v18, 0, v18, vcc_lo
	s_mov_b32 vcc_lo, s0
	v_add_f32_e32 v23, v23, v30
	v_div_fmas_f32 v20, v20, v22, v29
	v_cmp_ngt_f32_e32 vcc_lo, 0xc2b17218, v14
	v_mul_f32_e32 v24, v31, v21
	v_div_fixup_f32 v20, v20, v17, 1.0
	v_cndmask_b32_e32 v14, 0x7f800000, v18, vcc_lo
	v_exp_f32_e32 v18, v23
	s_waitcnt vmcnt(9)
	v_mul_f32_e32 v23, 0xbfb8aa3b, v12
	v_cmp_nlt_f32_e32 vcc_lo, 0x42ce8ed0, v13
	v_fma_f32 v22, -v28, v24, v31
	v_add_f32_e32 v14, 1.0, v14
	v_rndne_f32_e32 v29, v23
	v_fma_f32 v30, 0xbfb8aa3b, v12, -v23
	v_fmac_f32_e32 v24, v22, v21
	v_fma_f32 v22, -v25, v27, 1.0
	v_ldexp_f32 v18, v18, v26
	v_sub_f32_e32 v23, v23, v29
	v_fmac_f32_e32 v30, 0xb2a5705f, v12
	v_div_scale_f32 v32, null, v14, v14, 1.0
	v_cndmask_b32_e32 v18, 0, v18, vcc_lo
	v_cmp_ngt_f32_e32 vcc_lo, 0xc2b17218, v13
	v_add_f32_e32 v23, v23, v30
	v_fmac_f32_e32 v27, v22, v27
	v_rcp_f32_e32 v22, v32
	v_div_scale_f32 v26, s0, 1.0, v15, 1.0
	v_cndmask_b32_e32 v13, 0x7f800000, v18, vcc_lo
	v_exp_f32_e32 v17, v23
	v_cvt_i32_f32_e32 v29, v29
	v_mul_f32_e32 v18, v26, v27
	v_fma_f32 v23, -v28, v24, v31
	v_add_f32_e32 v13, 1.0, v13
	v_cmp_nlt_f32_e32 vcc_lo, 0x42ce8ed0, v12
	v_fma_f32 v28, -v32, v22, 1.0
	v_fma_f32 v30, -v25, v18, v26
	v_div_scale_f32 v31, null, v13, v13, 1.0
	v_ldexp_f32 v17, v17, v29
	v_fmac_f32_e32 v22, v28, v22
	v_div_scale_f32 v28, s2, 1.0, v14, 1.0
	v_rcp_f32_e32 v29, v31
	v_cndmask_b32_e32 v17, 0, v17, vcc_lo
	s_mov_b32 vcc_lo, s1
	v_fmac_f32_e32 v18, v30, v27
	v_div_fmas_f32 v21, v23, v21, v24
	v_cmp_ngt_f32_e32 vcc_lo, 0xc2b17218, v12
	v_mul_f32_e32 v23, v28, v22
	v_div_scale_f32 v30, s1, 1.0, v13, 1.0
	v_fma_f32 v24, -v25, v18, v26
	v_cndmask_b32_e32 v12, 0x7f800000, v17, vcc_lo
	v_fma_f32 v17, -v31, v29, 1.0
	s_waitcnt vmcnt(8)
	v_mul_f32_e32 v25, 0xbfb8aa3b, v11
	v_div_fixup_f32 v21, v21, v16, 1.0
	v_fma_f32 v16, -v32, v23, v28
	v_add_f32_e32 v12, 1.0, v12
	v_fmac_f32_e32 v29, v17, v29
	v_rndne_f32_e32 v17, v25
	v_fma_f32 v26, 0xbfb8aa3b, v11, -v25
	v_fmac_f32_e32 v23, v16, v22
	s_mov_b32 vcc_lo, s0
	v_div_scale_f32 v16, null, v12, v12, 1.0
	v_sub_f32_e32 v25, v25, v17
	v_fmac_f32_e32 v26, 0xb2a5705f, v11
	v_div_fmas_f32 v18, v24, v27, v18
	v_fma_f32 v24, -v32, v23, v28
	v_mul_f32_e32 v27, v30, v29
	s_mov_b32 vcc_lo, s2
	v_add_f32_e32 v25, v25, v26
	v_rcp_f32_e32 v33, v16
	v_div_fmas_f32 v22, v24, v22, v23
	v_fma_f32 v24, -v31, v27, v30
	v_div_fixup_f32 v23, v18, v15, 1.0
	v_exp_f32_e32 v25, v25
	s_waitcnt vmcnt(7)
	v_mul_f32_e32 v15, 0xbfb8aa3b, v10
	v_div_fixup_f32 v22, v22, v14, 1.0
	v_cvt_i32_f32_e32 v14, v17
	v_fmac_f32_e32 v27, v24, v29
	v_cmp_nlt_f32_e32 vcc_lo, 0x42ce8ed0, v11
	v_fma_f32 v26, -v16, v33, 1.0
	v_fma_f32 v24, 0xbfb8aa3b, v10, -v15
	v_div_scale_f32 v17, s0, 1.0, v12, 1.0
	v_ldexp_f32 v14, v25, v14
	v_fma_f32 v18, -v31, v27, v30
	v_rndne_f32_e32 v25, v15
	v_fmac_f32_e32 v33, v26, v33
	v_fmac_f32_e32 v24, 0xb2a5705f, v10
	v_cndmask_b32_e32 v14, 0, v14, vcc_lo
	s_mov_b32 vcc_lo, s1
	v_sub_f32_e32 v15, v15, v25
	v_div_fmas_f32 v18, v18, v29, v27
	v_cmp_ngt_f32_e32 vcc_lo, 0xc2b17218, v11
	v_mul_f32_e32 v26, v17, v33
	v_cvt_i32_f32_e32 v25, v25
	v_cndmask_b32_e32 v11, 0x7f800000, v14, vcc_lo
	v_add_f32_e32 v14, v15, v24
	s_waitcnt vmcnt(6)
	v_mul_f32_e32 v15, 0xbfb8aa3b, v9
	v_fma_f32 v27, -v16, v26, v17
	v_div_fixup_f32 v24, v18, v13, 1.0
	v_cmp_nlt_f32_e32 vcc_lo, 0x42ce8ed0, v10
	v_exp_f32_e32 v13, v14
	v_rndne_f32_e32 v14, v15
	v_fma_f32 v18, 0xbfb8aa3b, v9, -v15
	v_fmac_f32_e32 v26, v27, v33
	s_waitcnt vmcnt(5)
	v_mul_f32_e32 v27, 0xbfb8aa3b, v8
	v_add_f32_e32 v11, 1.0, v11
	v_sub_f32_e32 v15, v15, v14
	v_fmac_f32_e32 v18, 0xb2a5705f, v9
	v_fma_f32 v16, -v16, v26, v17
	v_rndne_f32_e32 v29, v27
	v_fma_f32 v30, 0xbfb8aa3b, v8, -v27
	v_ldexp_f32 v13, v13, v25
	v_add_f32_e32 v15, v15, v18
	v_div_scale_f32 v28, null, v11, v11, 1.0
	v_sub_f32_e32 v18, v27, v29
	v_fmac_f32_e32 v30, 0xb2a5705f, v8
	v_cndmask_b32_e32 v13, 0, v13, vcc_lo
	v_exp_f32_e32 v15, v15
	v_cmp_ngt_f32_e32 vcc_lo, 0xc2b17218, v10
	v_rcp_f32_e32 v31, v28
	v_add_f32_e32 v17, v18, v30
	v_cndmask_b32_e32 v10, 0x7f800000, v13, vcc_lo
	v_cvt_i32_f32_e32 v13, v14
	s_mov_b32 vcc_lo, s0
	v_exp_f32_e32 v14, v17
	v_div_fmas_f32 v16, v16, v33, v26
	v_cmp_nlt_f32_e32 vcc_lo, 0x42ce8ed0, v9
	v_ldexp_f32 v13, v15, v13
	v_cvt_i32_f32_e32 v15, v29
	v_cmp_ngt_f32_e64 s0, 0xc2b17218, v8
	v_add_f32_e32 v10, 1.0, v10
	v_fma_f32 v18, -v28, v31, 1.0
	v_cndmask_b32_e32 v13, 0, v13, vcc_lo
	v_cmp_ngt_f32_e32 vcc_lo, 0xc2b17218, v9
	v_ldexp_f32 v14, v14, v15
	v_div_scale_f32 v15, null, v10, v10, 1.0
	v_fmac_f32_e32 v31, v18, v31
	v_cndmask_b32_e32 v9, 0x7f800000, v13, vcc_lo
	v_cmp_nlt_f32_e32 vcc_lo, 0x42ce8ed0, v8
	v_rcp_f32_e32 v17, v15
	s_waitcnt vmcnt(4)
	v_mul_f32_e32 v26, 0xbfb8aa3b, v7
	v_div_fixup_f32 v25, v16, v12, 1.0
	v_add_f32_e32 v9, 1.0, v9
	v_cndmask_b32_e32 v13, 0, v14, vcc_lo
	v_div_scale_f32 v14, vcc_lo, 1.0, v11, 1.0
	v_rndne_f32_e32 v32, v26
	v_fma_f32 v33, 0xbfb8aa3b, v7, -v26
	v_cndmask_b32_e64 v8, 0x7f800000, v13, s0
	v_mul_f32_e32 v13, v14, v31
	v_fma_f32 v16, -v15, v17, 1.0
	v_div_scale_f32 v18, null, v9, v9, 1.0
	v_add_f32_e32 v8, 1.0, v8
	v_fma_f32 v12, -v28, v13, v14
	v_sub_f32_e32 v26, v26, v32
	v_fmac_f32_e32 v33, 0xb2a5705f, v7
	v_fmac_f32_e32 v17, v16, v17
	v_div_scale_f32 v29, null, v8, v8, 1.0
	v_div_scale_f32 v16, s0, 1.0, v10, 1.0
	v_rcp_f32_e32 v27, v18
	v_rcp_f32_e32 v30, v29
	v_fmac_f32_e32 v13, v12, v31
	v_add_f32_e32 v26, v26, v33
	v_mul_f32_e32 v12, v16, v17
	v_div_scale_f32 v38, s2, 1.0, v8, 1.0
	v_fma_f32 v14, -v28, v13, v14
	v_fma_f32 v28, -v15, v12, v16
	v_fma_f32 v35, -v18, v27, 1.0
	v_fma_f32 v36, -v29, v30, 1.0
	v_div_fmas_f32 v13, v14, v31, v13
	v_cvt_i32_f32_e32 v14, v32
	v_fmac_f32_e32 v12, v28, v17
	v_fmac_f32_e32 v27, v35, v27
	;; [unrolled: 1-line block ×3, first 2 shown]
	v_exp_f32_e32 v36, v26
	v_div_scale_f32 v35, s1, 1.0, v9, 1.0
	v_div_fixup_f32 v26, v13, v11, 1.0
	v_cmp_nlt_f32_e32 vcc_lo, 0x42ce8ed0, v7
	v_fma_f32 v13, -v15, v12, v16
	v_mul_f32_e32 v33, v35, v27
	v_mul_f32_e32 v31, v38, v30
	v_ldexp_f32 v11, v36, v14
	v_fma_f32 v28, -v18, v33, v35
	v_fma_f32 v14, -v29, v31, v38
	v_cndmask_b32_e32 v11, 0, v11, vcc_lo
	s_mov_b32 vcc_lo, s0
	v_fmac_f32_e32 v33, v28, v27
	v_div_fmas_f32 v12, v13, v17, v12
	v_cmp_ngt_f32_e32 vcc_lo, 0xc2b17218, v7
	v_fmac_f32_e32 v31, v14, v30
	v_fma_f32 v13, -v18, v33, v35
	v_cndmask_b32_e32 v7, 0x7f800000, v11, vcc_lo
	s_waitcnt vmcnt(3)
	v_mul_f32_e32 v11, 0xbfb8aa3b, v6
	v_fma_f32 v16, -v29, v31, v38
	s_mov_b32 vcc_lo, s1
	v_div_fixup_f32 v29, v12, v10, 1.0
	v_div_fmas_f32 v13, v13, v27, v33
	v_rndne_f32_e32 v14, v11
	v_fma_f32 v15, 0xbfb8aa3b, v6, -v11
	s_mov_b32 vcc_lo, s2
	v_add_f32_e32 v7, 1.0, v7
	v_div_fmas_f32 v16, v16, v30, v31
	v_sub_f32_e32 v11, v11, v14
	v_fmac_f32_e32 v15, 0xb2a5705f, v6
	v_div_fixup_f32 v28, v13, v9, 1.0
	v_div_scale_f32 v17, null, v7, v7, 1.0
	v_div_fixup_f32 v27, v16, v8, 1.0
	v_add_f32_e32 v11, v11, v15
	s_waitcnt vmcnt(2)
	v_mul_f32_e32 v15, 0xbfb8aa3b, v5
	v_cvt_i32_f32_e32 v13, v14
	v_rcp_f32_e32 v18, v17
	v_cmp_nlt_f32_e32 vcc_lo, 0x42ce8ed0, v6
	v_exp_f32_e32 v8, v11
	v_rndne_f32_e32 v9, v15
	v_fma_f32 v10, 0xbfb8aa3b, v5, -v15
	s_waitcnt vmcnt(1)
	v_mul_f32_e32 v11, 0xbfb8aa3b, v4
	s_waitcnt vmcnt(0)
	v_mul_f32_e32 v30, 0xbfb8aa3b, v3
	v_sub_f32_e32 v14, v15, v9
	v_fmac_f32_e32 v10, 0xb2a5705f, v5
	v_rndne_f32_e32 v15, v11
	v_fma_f32 v16, 0xbfb8aa3b, v4, -v11
	v_ldexp_f32 v8, v8, v13
	v_fma_f32 v12, -v17, v18, 1.0
	v_add_f32_e32 v10, v14, v10
	v_sub_f32_e32 v11, v11, v15
	v_fmac_f32_e32 v16, 0xb2a5705f, v4
	v_cndmask_b32_e32 v8, 0, v8, vcc_lo
	v_cmp_ngt_f32_e32 vcc_lo, 0xc2b17218, v6
	v_exp_f32_e32 v10, v10
	v_rndne_f32_e32 v13, v30
	v_add_f32_e32 v11, v11, v16
	v_fma_f32 v14, 0xbfb8aa3b, v3, -v30
	v_cndmask_b32_e32 v6, 0x7f800000, v8, vcc_lo
	v_cvt_i32_f32_e32 v9, v9
	v_sub_f32_e32 v16, v30, v13
	v_exp_f32_e32 v8, v11
	v_fmac_f32_e32 v14, 0xb2a5705f, v3
	v_fmac_f32_e32 v18, v12, v18
	v_cvt_i32_f32_e32 v12, v15
	v_ldexp_f32 v9, v10, v9
	v_cmp_nlt_f32_e32 vcc_lo, 0x42ce8ed0, v5
	v_add_f32_e32 v11, v16, v14
	v_add_f32_e32 v6, 1.0, v6
	v_ldexp_f32 v8, v8, v12
	v_cndmask_b32_e32 v9, 0, v9, vcc_lo
	v_cmp_nlt_f32_e32 vcc_lo, 0x42ce8ed0, v4
	v_exp_f32_e32 v10, v11
	v_cvt_i32_f32_e32 v12, v13
	v_div_scale_f32 v11, null, v6, v6, 1.0
	v_cndmask_b32_e32 v8, 0, v8, vcc_lo
	v_cmp_ngt_f32_e32 vcc_lo, 0xc2b17218, v5
	v_cndmask_b32_e32 v5, 0x7f800000, v9, vcc_lo
	v_cmp_ngt_f32_e32 vcc_lo, 0xc2b17218, v4
	v_ldexp_f32 v9, v10, v12
	v_add_f32_e32 v5, 1.0, v5
	v_cndmask_b32_e32 v4, 0x7f800000, v8, vcc_lo
	v_cmp_nlt_f32_e32 vcc_lo, 0x42ce8ed0, v3
	v_rcp_f32_e32 v8, v11
	v_div_scale_f32 v10, null, v5, v5, 1.0
	v_cndmask_b32_e32 v9, 0, v9, vcc_lo
	v_cmp_ngt_f32_e32 vcc_lo, 0xc2b17218, v3
	v_add_f32_e32 v4, 1.0, v4
	v_rcp_f32_e32 v13, v10
	v_cndmask_b32_e32 v3, 0x7f800000, v9, vcc_lo
	v_div_scale_f32 v9, null, v4, v4, 1.0
	v_div_scale_f32 v12, vcc_lo, 1.0, v7, 1.0
	v_add_f32_e32 v3, 1.0, v3
	v_rcp_f32_e32 v15, v9
	v_fma_f32 v14, -v11, v8, 1.0
	v_mul_f32_e32 v16, v12, v18
	v_fma_f32 v31, -v10, v13, 1.0
	v_div_scale_f32 v30, null, v3, v3, 1.0
	v_fmac_f32_e32 v8, v14, v8
	v_div_scale_f32 v14, s0, 1.0, v6, 1.0
	v_rcp_f32_e32 v32, v30
	v_fma_f32 v35, -v9, v15, 1.0
	v_fma_f32 v33, -v17, v16, v12
	v_mul_f32_e32 v36, v14, v8
	v_fmac_f32_e32 v13, v31, v13
	v_div_scale_f32 v31, s1, 1.0, v5, 1.0
	v_fmac_f32_e32 v15, v35, v15
	v_div_scale_f32 v35, s2, 1.0, v4, 1.0
	v_fma_f32 v38, -v30, v32, 1.0
	v_fmac_f32_e32 v16, v33, v18
	v_fma_f32 v33, -v11, v36, v14
	v_mul_f32_e32 v39, v31, v13
	v_mul_f32_e32 v40, v35, v15
	v_fmac_f32_e32 v32, v38, v32
	v_div_scale_f32 v38, s3, 1.0, v3, 1.0
	v_fmac_f32_e32 v36, v33, v8
	v_fma_f32 v12, -v17, v16, v12
	v_fma_f32 v17, -v10, v39, v31
	v_mul_f32_e32 v41, v38, v32
	v_fma_f32 v33, -v9, v40, v35
	v_fma_f32 v11, -v11, v36, v14
	v_div_fmas_f32 v12, v12, v18, v16
	v_fmac_f32_e32 v39, v17, v13
	v_fma_f32 v14, -v30, v41, v38
	v_fmac_f32_e32 v40, v33, v15
	s_mov_b32 vcc_lo, s0
	v_fma_f32 v10, -v10, v39, v31
	v_fmac_f32_e32 v41, v14, v32
	v_fma_f32 v9, -v9, v40, v35
	v_div_fmas_f32 v8, v11, v8, v36
	s_mov_b32 vcc_lo, s1
	v_div_fixup_f32 v35, v12, v7, 1.0
	v_fma_f32 v11, -v30, v41, v38
	v_div_fmas_f32 v10, v10, v13, v39
	s_mov_b32 vcc_lo, s2
	v_div_fixup_f32 v33, v8, v6, 1.0
	v_div_fmas_f32 v9, v9, v15, v40
	s_mov_b32 vcc_lo, s3
	v_div_fmas_f32 v11, v11, v32, v41
	v_div_fixup_f32 v32, v10, v5, 1.0
	v_div_fixup_f32 v31, v9, v4, 1.0
	;; [unrolled: 1-line block ×3, first 2 shown]
.LBB9_6:
	s_waitcnt vmcnt(15)
	v_mov_b32_e32 v18, v19
	s_waitcnt vmcnt(14)
	v_mov_b32_e32 v17, v20
	;; [unrolled: 2-line block ×16, first 2 shown]
.LBB9_7:
	s_lshr_b32 s0, s4, 8
	s_cmp_gt_i32 s25, 0
	s_mov_b32 s1, 0
	s_cbranch_scc1 .LBB9_9
; %bb.8:
	s_bitcmp1_b32 s0, 0
	s_cselect_b32 s9, -1, 0
	s_branch .LBB9_10
.LBB9_9:
	s_mov_b32 s1, -1
                                        ; implicit-def: $sgpr9
.LBB9_10:
	v_add_nc_u32_e32 v52, 32, v0
	v_add_nc_u32_e32 v51, 64, v0
	v_add_nc_u32_e32 v50, 0x60, v0
	v_or_b32_e32 v49, 0x80, v0
	v_add_nc_u32_e32 v48, 0xa0, v0
	v_add_nc_u32_e32 v47, 0xc0, v0
	v_add_nc_u32_e32 v46, 0xe0, v0
	v_or_b32_e32 v45, 0x100, v0
	;; [unrolled: 4-line block ×3, first 2 shown]
	v_add_nc_u32_e32 v40, 0x1a0, v0
	v_add_nc_u32_e32 v39, 0x1c0, v0
	;; [unrolled: 1-line block ×3, first 2 shown]
	v_mbcnt_lo_u32_b32 v53, -1, 0
	s_andn2_b32 vcc_lo, exec_lo, s1
	s_mov_b32 s8, 0
	s_cbranch_vccnz .LBB9_37
; %bb.11:
	s_clause 0xf
	global_load_dword v19, v37, s[22:23]
	global_load_dword v20, v37, s[22:23] offset:128
	global_load_dword v21, v37, s[22:23] offset:256
	;; [unrolled: 1-line block ×15, first 2 shown]
	s_waitcnt vmcnt(31)
	v_cmp_o_f32_e32 vcc_lo, v18, v18
	s_bitcmp1_b32 s0, 0
	s_cselect_b32 s9, -1, 0
	v_cndmask_b32_e32 v54, 0xff7fffff, v18, vcc_lo
	s_waitcnt vmcnt(30)
	v_cmp_o_f32_e32 vcc_lo, v17, v17
	v_cndmask_b32_e32 v55, 0xff7fffff, v17, vcc_lo
	s_waitcnt vmcnt(29)
	v_cmp_o_f32_e32 vcc_lo, v16, v16
	v_mov_b32_e32 v17, 0
	v_cndmask_b32_e32 v56, 0xff7fffff, v16, vcc_lo
	s_waitcnt vmcnt(28)
	v_cmp_o_f32_e32 vcc_lo, v15, v15
	v_cndmask_b32_e32 v57, 0xff7fffff, v15, vcc_lo
	s_waitcnt vmcnt(27)
	v_cmp_o_f32_e32 vcc_lo, v14, v14
	v_mov_b32_e32 v15, v17
	v_cndmask_b32_e32 v58, 0xff7fffff, v14, vcc_lo
	s_waitcnt vmcnt(26)
	v_cmp_o_f32_e32 vcc_lo, v13, v13
	v_mov_b32_e32 v14, v17
	;; [unrolled: 4-line block ×9, first 2 shown]
	v_cndmask_b32_e32 v66, 0xff7fffff, v6, vcc_lo
	s_waitcnt vmcnt(18)
	v_cmp_o_f32_e32 vcc_lo, v5, v5
	v_xor_b32_e32 v6, 1, v53
	v_cndmask_b32_e32 v67, 0xff7fffff, v5, vcc_lo
	s_waitcnt vmcnt(17)
	v_cmp_o_f32_e32 vcc_lo, v4, v4
	v_xor_b32_e32 v5, 2, v53
	;; [unrolled: 4-line block ×3, first 2 shown]
	v_cndmask_b32_e32 v69, 0xff7fffff, v3, vcc_lo
	v_add_co_u32 v35, vcc_lo, s20, v1
	v_add_co_ci_u32_e64 v36, null, s21, v2, vcc_lo
	v_xor_b32_e32 v2, 16, v53
	v_xor_b32_e32 v3, 8, v53
	v_mov_b32_e32 v1, 0
	v_cmp_gt_i32_e32 vcc_lo, 32, v2
	v_cndmask_b32_e32 v16, v53, v2, vcc_lo
	v_cmp_gt_i32_e32 vcc_lo, 32, v3
	v_mov_b32_e32 v2, v17
	v_lshlrev_b32_e32 v70, 2, v16
	v_cndmask_b32_e32 v18, v53, v3, vcc_lo
	v_cmp_gt_i32_e32 vcc_lo, 32, v4
	v_mov_b32_e32 v3, v17
	v_mov_b32_e32 v16, v17
	v_lshlrev_b32_e32 v71, 2, v18
	v_cndmask_b32_e32 v72, v53, v4, vcc_lo
	v_cmp_gt_i32_e32 vcc_lo, 32, v5
	v_mov_b32_e32 v4, v17
	v_lshlrev_b32_e32 v72, 2, v72
	v_cndmask_b32_e32 v73, v53, v5, vcc_lo
	v_cmp_gt_i32_e32 vcc_lo, 32, v6
	v_mov_b32_e32 v5, v17
	v_lshlrev_b32_e32 v73, 2, v73
	v_cndmask_b32_e32 v74, v53, v6, vcc_lo
	v_mov_b32_e32 v6, v17
	v_lshlrev_b32_e32 v74, 2, v74
	s_waitcnt vmcnt(15)
	v_add_f32_e32 v75, v54, v19
	s_waitcnt vmcnt(14)
	v_add_f32_e32 v76, v55, v20
	;; [unrolled: 2-line block ×16, first 2 shown]
	s_branch .LBB9_13
.LBB9_12:                               ;   in Loop: Header=BB9_13 Depth=1
	s_or_b32 exec_lo, exec_lo, s0
	s_and_b32 s0, s8, 31
	s_waitcnt lgkmcnt(0)
	v_mov_b32_e32 v33, v16
	v_mov_b32_e32 v18, v1
	v_cmp_eq_u32_e32 vcc_lo, s0, v0
	s_lshr_b32 m0, s8, 5
	v_mov_b32_e32 v32, v15
	v_mov_b32_e32 v31, v14
	;; [unrolled: 1-line block ×14, first 2 shown]
	v_movreld_b32_e32 v18, v91
	v_cndmask_b32_e32 v16, v16, v33, vcc_lo
	v_cndmask_b32_e32 v15, v15, v32, vcc_lo
	;; [unrolled: 1-line block ×16, first 2 shown]
	v_add_co_u32 v35, vcc_lo, v35, 4
	v_add_co_ci_u32_e64 v36, null, 0, v36, vcc_lo
	s_add_i32 s8, s8, 1
	s_cmp_eq_u32 s25, s8
	s_cbranch_scc1 .LBB9_38
.LBB9_13:                               ; =>This Inner Loop Header: Depth=1
	v_cmp_gt_f32_e32 vcc_lo, v76, v75
	v_cndmask_b32_e32 v18, v75, v76, vcc_lo
	v_cndmask_b32_e32 v19, v54, v55, vcc_lo
	;; [unrolled: 1-line block ×3, first 2 shown]
	v_cmp_gt_f32_e64 s0, v77, v18
	v_cndmask_b32_e64 v18, v18, v77, s0
	v_cndmask_b32_e64 v19, v19, v56, s0
	v_cndmask_b32_e64 v20, v20, v51, s0
	v_cmp_gt_f32_e64 s1, v78, v18
	v_cndmask_b32_e64 v18, v18, v78, s1
	v_cndmask_b32_e64 v19, v19, v57, s1
	v_cndmask_b32_e64 v20, v20, v50, s1
	;; [unrolled: 4-line block ×8, first 2 shown]
	v_cmp_gt_f32_e32 vcc_lo, v85, v18
	v_cndmask_b32_e32 v18, v18, v85, vcc_lo
	v_cndmask_b32_e32 v19, v19, v64, vcc_lo
	;; [unrolled: 1-line block ×3, first 2 shown]
	v_cmp_gt_f32_e64 s0, v86, v18
	v_cndmask_b32_e64 v18, v18, v86, s0
	v_cndmask_b32_e64 v19, v19, v65, s0
	v_cndmask_b32_e64 v20, v20, v42, s0
	v_cmp_gt_f32_e64 s1, v87, v18
	v_cndmask_b32_e64 v18, v18, v87, s1
	v_cndmask_b32_e64 v19, v19, v66, s1
	v_cndmask_b32_e64 v20, v20, v41, s1
	;; [unrolled: 4-line block ×3, first 2 shown]
	s_mov_b32 s2, exec_lo
	v_cmp_gt_f32_e32 vcc_lo, v89, v18
	v_cndmask_b32_e32 v18, v18, v89, vcc_lo
	v_cndmask_b32_e32 v21, v19, v68, vcc_lo
	v_cmp_gt_f32_e64 s0, v90, v18
	v_cndmask_b32_e64 v19, v18, v90, s0
	v_cndmask_b32_e32 v18, v20, v39, vcc_lo
	v_cndmask_b32_e64 v91, v21, v69, s0
	ds_bpermute_b32 v20, v70, v19
	v_cndmask_b32_e64 v18, v18, v38, s0
	ds_bpermute_b32 v22, v70, v91
	ds_bpermute_b32 v21, v70, v18
	s_waitcnt lgkmcnt(2)
	v_cmp_lt_f32_e64 s1, v19, v20
	v_cmpx_nlt_f32_e32 v19, v20
	s_cbranch_execz .LBB9_15
; %bb.14:                               ;   in Loop: Header=BB9_13 Depth=1
	v_cmp_eq_f32_e32 vcc_lo, v19, v20
	s_waitcnt lgkmcnt(0)
	v_cmp_lt_i32_e64 s0, v21, v18
	s_andn2_b32 s1, s1, exec_lo
	s_and_b32 s0, vcc_lo, s0
	s_and_b32 s0, s0, exec_lo
	s_or_b32 s1, s1, s0
.LBB9_15:                               ;   in Loop: Header=BB9_13 Depth=1
	s_or_b32 exec_lo, exec_lo, s2
	s_and_saveexec_b32 s0, s1
	s_cbranch_execz .LBB9_17
; %bb.16:                               ;   in Loop: Header=BB9_13 Depth=1
	v_mov_b32_e32 v19, v20
	s_waitcnt lgkmcnt(1)
	v_mov_b32_e32 v91, v22
	s_waitcnt lgkmcnt(0)
	v_mov_b32_e32 v18, v21
.LBB9_17:                               ;   in Loop: Header=BB9_13 Depth=1
	s_or_b32 exec_lo, exec_lo, s0
	s_waitcnt lgkmcnt(1)
	ds_bpermute_b32 v22, v71, v19
	s_waitcnt lgkmcnt(1)
	ds_bpermute_b32 v21, v71, v91
	ds_bpermute_b32 v20, v71, v18
	s_mov_b32 s2, exec_lo
	s_waitcnt lgkmcnt(2)
	v_cmp_lt_f32_e64 s1, v19, v22
	v_cmpx_nlt_f32_e32 v19, v22
	s_cbranch_execz .LBB9_19
; %bb.18:                               ;   in Loop: Header=BB9_13 Depth=1
	v_cmp_eq_f32_e32 vcc_lo, v19, v22
	s_waitcnt lgkmcnt(0)
	v_cmp_lt_i32_e64 s0, v20, v18
	s_andn2_b32 s1, s1, exec_lo
	s_and_b32 s0, vcc_lo, s0
	s_and_b32 s0, s0, exec_lo
	s_or_b32 s1, s1, s0
.LBB9_19:                               ;   in Loop: Header=BB9_13 Depth=1
	s_or_b32 exec_lo, exec_lo, s2
	s_and_saveexec_b32 s0, s1
	s_cbranch_execz .LBB9_21
; %bb.20:                               ;   in Loop: Header=BB9_13 Depth=1
	v_mov_b32_e32 v19, v22
	s_waitcnt lgkmcnt(1)
	v_mov_b32_e32 v91, v21
	s_waitcnt lgkmcnt(0)
	v_mov_b32_e32 v18, v20
.LBB9_21:                               ;   in Loop: Header=BB9_13 Depth=1
	s_or_b32 exec_lo, exec_lo, s0
	ds_bpermute_b32 v22, v72, v19
	s_waitcnt lgkmcnt(2)
	ds_bpermute_b32 v21, v72, v91
	s_waitcnt lgkmcnt(2)
	ds_bpermute_b32 v20, v72, v18
	s_mov_b32 s2, exec_lo
	s_waitcnt lgkmcnt(2)
	v_cmp_lt_f32_e64 s1, v19, v22
	v_cmpx_nlt_f32_e32 v19, v22
	s_cbranch_execz .LBB9_23
; %bb.22:                               ;   in Loop: Header=BB9_13 Depth=1
	v_cmp_eq_f32_e32 vcc_lo, v19, v22
	s_waitcnt lgkmcnt(0)
	v_cmp_lt_i32_e64 s0, v20, v18
	s_andn2_b32 s1, s1, exec_lo
	s_and_b32 s0, vcc_lo, s0
	s_and_b32 s0, s0, exec_lo
	s_or_b32 s1, s1, s0
.LBB9_23:                               ;   in Loop: Header=BB9_13 Depth=1
	s_or_b32 exec_lo, exec_lo, s2
	s_and_saveexec_b32 s0, s1
	s_cbranch_execz .LBB9_25
; %bb.24:                               ;   in Loop: Header=BB9_13 Depth=1
	v_mov_b32_e32 v19, v22
	s_waitcnt lgkmcnt(1)
	v_mov_b32_e32 v91, v21
	s_waitcnt lgkmcnt(0)
	v_mov_b32_e32 v18, v20
.LBB9_25:                               ;   in Loop: Header=BB9_13 Depth=1
	s_or_b32 exec_lo, exec_lo, s0
	ds_bpermute_b32 v22, v73, v19
	s_waitcnt lgkmcnt(2)
	ds_bpermute_b32 v21, v73, v91
	s_waitcnt lgkmcnt(2)
	;; [unrolled: 30-line block ×3, first 2 shown]
	ds_bpermute_b32 v20, v74, v18
	s_mov_b32 s2, exec_lo
	s_waitcnt lgkmcnt(2)
	v_cmp_lt_f32_e64 s1, v19, v22
	v_cmpx_nlt_f32_e32 v19, v22
	s_cbranch_execz .LBB9_31
; %bb.30:                               ;   in Loop: Header=BB9_13 Depth=1
	v_cmp_eq_f32_e32 vcc_lo, v19, v22
	s_waitcnt lgkmcnt(0)
	v_cmp_lt_i32_e64 s0, v20, v18
	s_andn2_b32 s1, s1, exec_lo
	s_and_b32 s0, vcc_lo, s0
	s_and_b32 s0, s0, exec_lo
	s_or_b32 s1, s1, s0
.LBB9_31:                               ;   in Loop: Header=BB9_13 Depth=1
	s_or_b32 exec_lo, exec_lo, s2
	s_and_saveexec_b32 s0, s1
	s_cbranch_execz .LBB9_33
; %bb.32:                               ;   in Loop: Header=BB9_13 Depth=1
	s_waitcnt lgkmcnt(1)
	v_mov_b32_e32 v91, v21
	s_waitcnt lgkmcnt(0)
	v_mov_b32_e32 v18, v20
.LBB9_33:                               ;   in Loop: Header=BB9_13 Depth=1
	s_or_b32 exec_lo, exec_lo, s0
	v_and_b32_e32 v19, 31, v18
	v_cmp_eq_u32_e32 vcc_lo, v19, v0
	s_and_saveexec_b32 s1, vcc_lo
	s_cbranch_execz .LBB9_35
; %bb.34:                               ;   in Loop: Header=BB9_13 Depth=1
	v_ashrrev_i32_e32 v19, 31, v18
	v_lshrrev_b32_e32 v19, 27, v19
	v_add_nc_u32_e32 v19, v18, v19
	v_ashrrev_i32_e32 v19, 5, v19
	v_cmp_ne_u32_e64 s0, 15, v19
	v_cndmask_b32_e64 v90, 0xff800000, v90, s0
	v_cmp_ne_u32_e64 s0, 14, v19
	v_cndmask_b32_e64 v89, 0xff800000, v89, s0
	;; [unrolled: 2-line block ×16, first 2 shown]
.LBB9_35:                               ;   in Loop: Header=BB9_13 Depth=1
	s_or_b32 exec_lo, exec_lo, s1
	s_and_saveexec_b32 s0, vcc_lo
	s_cbranch_execz .LBB9_12
; %bb.36:                               ;   in Loop: Header=BB9_13 Depth=1
	v_add_f32_e32 v19, v17, v91
	global_store_dword v[35:36], v18, off
	v_cndmask_b32_e64 v17, v17, v19, s9
	s_branch .LBB9_12
.LBB9_37:
	s_waitcnt vmcnt(14)
	v_mov_b32_e32 v17, 0
	v_mov_b32_e32 v18, v17
	;; [unrolled: 1-line block ×16, first 2 shown]
	s_waitcnt vmcnt(0)
	v_mov_b32_e32 v1, v17
	v_mov_b32_e32 v2, v18
	;; [unrolled: 1-line block ×16, first 2 shown]
.LBB9_38:
	s_and_b32 vcc_lo, exec_lo, s9
	s_cbranch_vccz .LBB9_40
; %bb.39:
	v_xor_b32_e32 v18, 16, v53
	v_xor_b32_e32 v19, 8, v53
	v_cmp_gt_i32_e32 vcc_lo, 32, v18
	v_cndmask_b32_e32 v18, v53, v18, vcc_lo
	v_cmp_gt_i32_e32 vcc_lo, 32, v19
	v_lshlrev_b32_e32 v18, 2, v18
	v_cndmask_b32_e32 v19, v53, v19, vcc_lo
	ds_bpermute_b32 v18, v18, v17
	v_lshlrev_b32_e32 v19, 2, v19
	s_waitcnt lgkmcnt(0)
	v_add_f32_e32 v17, v17, v18
	ds_bpermute_b32 v18, v19, v17
	v_xor_b32_e32 v19, 4, v53
	v_cmp_gt_i32_e32 vcc_lo, 32, v19
	v_cndmask_b32_e32 v19, v53, v19, vcc_lo
	v_lshlrev_b32_e32 v19, 2, v19
	s_waitcnt lgkmcnt(0)
	v_add_f32_e32 v17, v17, v18
	ds_bpermute_b32 v18, v19, v17
	v_xor_b32_e32 v19, 2, v53
	v_cmp_gt_i32_e32 vcc_lo, 32, v19
	v_cndmask_b32_e32 v19, v53, v19, vcc_lo
	;; [unrolled: 7-line block ×3, first 2 shown]
	v_lshlrev_b32_e32 v19, 2, v19
	s_waitcnt lgkmcnt(0)
	v_add_f32_e32 v17, v17, v18
	ds_bpermute_b32 v18, v19, v17
	v_max_f32_e64 v19, s26, s26
	s_waitcnt lgkmcnt(0)
	v_add_f32_e32 v17, v17, v18
	v_max_f32_e32 v17, v17, v19
	v_div_scale_f32 v18, null, v17, v17, 1.0
	v_div_scale_f32 v21, vcc_lo, 1.0, v17, 1.0
	v_rcp_f32_e32 v19, v18
	v_fma_f32 v20, -v18, v19, 1.0
	v_fmac_f32_e32 v19, v20, v19
	v_mul_f32_e32 v20, v21, v19
	v_fma_f32 v22, -v18, v20, v21
	v_fmac_f32_e32 v20, v22, v19
	v_fma_f32 v18, -v18, v20, v21
	v_div_fmas_f32 v18, v18, v19, v20
	v_div_fixup_f32 v17, v18, v17, 1.0
	v_mul_f32_e32 v1, v17, v1
	v_mul_f32_e32 v2, v17, v2
	;; [unrolled: 1-line block ×16, first 2 shown]
.LBB9_40:
	v_cmp_gt_i32_e64 s0, s25, v52
	v_cmp_gt_i32_e64 s1, s25, v51
	;; [unrolled: 1-line block ×16, first 2 shown]
	s_andn2_b32 vcc_lo, exec_lo, s16
	s_cbranch_vccnz .LBB9_42
; %bb.41:
	v_max_f32_e32 v17, v1, v1
	v_max_f32_e32 v18, v2, v2
	;; [unrolled: 1-line block ×4, first 2 shown]
	v_cndmask_b32_e64 v17, 0xff800000, v17, s15
	v_max_f32_e32 v18, v17, v18
	v_cndmask_b32_e64 v17, v17, v18, s0
	v_max_f32_e32 v18, v17, v19
	v_max_f32_e32 v19, v4, v4
	v_cndmask_b32_e64 v17, v17, v18, s1
	v_max_f32_e32 v18, v17, v19
	;; [unrolled: 3-line block ×3, first 2 shown]
	v_cndmask_b32_e64 v17, v17, v18, s3
	v_max_f32_e32 v18, v6, v6
	v_max_f32_e32 v19, v17, v17
	v_max_f32_e32 v18, v19, v18
	v_cndmask_b32_e64 v17, v17, v18, s4
	v_max_f32_e32 v18, v7, v7
	v_max_f32_e32 v19, v17, v17
	v_max_f32_e32 v18, v19, v18
	;; [unrolled: 4-line block ×10, first 2 shown]
	v_max_f32_e32 v19, v16, v16
	v_cndmask_b32_e64 v18, v17, v18, s13
	v_xor_b32_e32 v17, 16, v53
	v_max_f32_e32 v20, v18, v18
	v_cmp_gt_i32_e32 vcc_lo, 32, v17
	v_max_f32_e32 v19, v20, v19
	v_cndmask_b32_e32 v17, v53, v17, vcc_lo
	v_xor_b32_e32 v20, 8, v53
	v_cndmask_b32_e64 v18, v18, v19, s14
	v_lshlrev_b32_e32 v17, 2, v17
	v_cmp_gt_i32_e32 vcc_lo, 32, v20
	v_max_f32_e32 v21, v18, v18
	ds_bpermute_b32 v19, v17, v18
	v_cndmask_b32_e32 v20, v53, v20, vcc_lo
	v_lshlrev_b32_e32 v18, 2, v20
	s_waitcnt lgkmcnt(0)
	v_max_f32_e32 v19, v19, v19
	v_max_f32_e32 v20, v21, v19
	v_xor_b32_e32 v21, 4, v53
	ds_bpermute_b32 v19, v18, v20
	v_cmp_gt_i32_e32 vcc_lo, 32, v21
	v_cndmask_b32_e32 v21, v53, v21, vcc_lo
	s_waitcnt lgkmcnt(0)
	v_max_f32_e32 v22, v19, v19
	v_lshlrev_b32_e32 v19, 2, v21
	v_max_f32_e32 v21, v20, v22
	v_xor_b32_e32 v22, 2, v53
	ds_bpermute_b32 v20, v19, v21
	v_cmp_gt_i32_e32 vcc_lo, 32, v22
	v_cndmask_b32_e32 v22, v53, v22, vcc_lo
	s_waitcnt lgkmcnt(0)
	v_max_f32_e32 v23, v20, v20
	v_lshlrev_b32_e32 v20, 2, v22
	v_max_f32_e32 v22, v21, v23
	v_xor_b32_e32 v23, 1, v53
	ds_bpermute_b32 v21, v20, v22
	v_cmp_gt_i32_e32 vcc_lo, 32, v23
	v_cndmask_b32_e32 v23, v53, v23, vcc_lo
	s_waitcnt lgkmcnt(0)
	v_max_f32_e32 v24, v21, v21
	v_lshlrev_b32_e32 v21, 2, v23
	v_max_f32_e32 v22, v22, v24
	ds_bpermute_b32 v23, v21, v22
	s_waitcnt lgkmcnt(0)
	v_max_f32_e32 v23, v23, v23
	v_max_f32_e32 v22, v22, v23
	v_sub_f32_e32 v1, v1, v22
	v_sub_f32_e32 v2, v2, v22
	;; [unrolled: 1-line block ×16, first 2 shown]
	v_mul_f32_e32 v22, 0x3fb8aa3b, v1
	v_mul_f32_e32 v23, 0x3fb8aa3b, v2
	;; [unrolled: 1-line block ×4, first 2 shown]
	v_cmp_ngt_f32_e32 vcc_lo, 0xc2ce8ed0, v1
	v_fma_f32 v55, 0x3fb8aa3b, v1, -v22
	v_rndne_f32_e32 v56, v22
	v_fma_f32 v57, 0x3fb8aa3b, v2, -v23
	v_rndne_f32_e32 v58, v23
	v_fma_f32 v59, 0x3fb8aa3b, v3, -v24
	v_fmac_f32_e32 v55, 0x32a5705f, v1
	v_sub_f32_e32 v22, v22, v56
	v_fmac_f32_e32 v57, 0x32a5705f, v2
	v_sub_f32_e32 v23, v23, v58
	v_rndne_f32_e32 v60, v24
	v_cvt_i32_f32_e32 v56, v56
	v_add_f32_e32 v22, v22, v55
	v_cvt_i32_f32_e32 v58, v58
	v_add_f32_e32 v23, v23, v57
	v_fmac_f32_e32 v59, 0x32a5705f, v3
	v_sub_f32_e32 v24, v24, v60
	v_exp_f32_e32 v22, v22
	v_fma_f32 v61, 0x3fb8aa3b, v4, -v25
	v_exp_f32_e32 v23, v23
	v_rndne_f32_e32 v62, v25
	v_add_f32_e32 v24, v24, v59
	v_mul_f32_e32 v26, 0x3fb8aa3b, v5
	v_fmac_f32_e32 v61, 0x32a5705f, v4
	v_cvt_i32_f32_e32 v60, v60
	v_sub_f32_e32 v25, v25, v62
	v_exp_f32_e32 v24, v24
	v_ldexp_f32 v22, v22, v56
	v_fma_f32 v63, 0x3fb8aa3b, v5, -v26
	v_ldexp_f32 v23, v23, v58
	v_rndne_f32_e32 v64, v26
	v_add_f32_e32 v25, v25, v61
	v_cndmask_b32_e32 v22, 0, v22, vcc_lo
	v_cmp_ngt_f32_e32 vcc_lo, 0xc2ce8ed0, v2
	v_mul_f32_e32 v27, 0x3fb8aa3b, v6
	v_fmac_f32_e32 v63, 0x32a5705f, v5
	v_sub_f32_e32 v26, v26, v64
	v_ldexp_f32 v24, v24, v60
	v_cndmask_b32_e32 v23, 0, v23, vcc_lo
	v_cmp_nlt_f32_e32 vcc_lo, 0x42b17218, v1
	v_fma_f32 v65, 0x3fb8aa3b, v6, -v27
	v_rndne_f32_e32 v66, v27
	v_cvt_i32_f32_e32 v62, v62
	v_mul_f32_e32 v28, 0x3fb8aa3b, v7
	v_cndmask_b32_e32 v1, 0x7f800000, v22, vcc_lo
	v_cmp_nlt_f32_e32 vcc_lo, 0x42b17218, v2
	v_exp_f32_e32 v22, v25
	v_fmac_f32_e32 v65, 0x32a5705f, v6
	v_sub_f32_e32 v27, v27, v66
	v_cndmask_b32_e64 v1, 0, v1, s15
	v_cndmask_b32_e32 v2, 0x7f800000, v23, vcc_lo
	v_cmp_ngt_f32_e32 vcc_lo, 0xc2ce8ed0, v3
	v_add_f32_e32 v23, v26, v63
	v_fma_f32 v67, 0x3fb8aa3b, v7, -v28
	v_rndne_f32_e32 v68, v28
	v_add_f32_e32 v26, v2, v1
	v_cndmask_b32_e32 v24, 0, v24, vcc_lo
	v_cmp_nlt_f32_e32 vcc_lo, 0x42b17218, v3
	v_exp_f32_e32 v23, v23
	v_ldexp_f32 v22, v22, v62
	v_cvt_i32_f32_e32 v64, v64
	v_mul_f32_e32 v29, 0x3fb8aa3b, v8
	v_cndmask_b32_e32 v3, 0x7f800000, v24, vcc_lo
	v_cndmask_b32_e64 v24, v1, v26, s0
	v_cmp_ngt_f32_e32 vcc_lo, 0xc2ce8ed0, v4
	v_add_f32_e32 v26, v27, v65
	v_fmac_f32_e32 v67, 0x32a5705f, v7
	v_sub_f32_e32 v28, v28, v68
	v_add_f32_e32 v27, v24, v3
	v_cndmask_b32_e32 v22, 0, v22, vcc_lo
	v_cmp_nlt_f32_e32 vcc_lo, 0x42b17218, v4
	v_exp_f32_e32 v26, v26
	v_ldexp_f32 v23, v23, v64
	v_fma_f32 v69, 0x3fb8aa3b, v8, -v29
	v_rndne_f32_e32 v70, v29
	v_cndmask_b32_e32 v4, 0x7f800000, v22, vcc_lo
	v_cndmask_b32_e64 v22, v24, v27, s1
	v_cmp_ngt_f32_e32 vcc_lo, 0xc2ce8ed0, v5
	v_cvt_i32_f32_e32 v66, v66
	v_add_f32_e32 v24, v28, v67
	v_mul_f32_e32 v30, 0x3fb8aa3b, v9
	v_add_f32_e32 v28, v22, v4
	v_cndmask_b32_e32 v23, 0, v23, vcc_lo
	v_cmp_nlt_f32_e32 vcc_lo, 0x42b17218, v5
	v_fmac_f32_e32 v69, 0x32a5705f, v8
	v_sub_f32_e32 v29, v29, v70
	v_exp_f32_e32 v24, v24
	v_ldexp_f32 v26, v26, v66
	v_cndmask_b32_e32 v5, 0x7f800000, v23, vcc_lo
	v_cndmask_b32_e64 v22, v22, v28, s2
	v_cmp_ngt_f32_e32 vcc_lo, 0xc2ce8ed0, v6
	v_fma_f32 v71, 0x3fb8aa3b, v9, -v30
	v_rndne_f32_e32 v72, v30
	v_cvt_i32_f32_e32 v68, v68
	v_add_f32_e32 v23, v29, v69
	v_cndmask_b32_e32 v26, 0, v26, vcc_lo
	v_add_f32_e32 v29, v22, v5
	v_cmp_nlt_f32_e32 vcc_lo, 0x42b17218, v6
	v_mul_f32_e32 v31, 0x3fb8aa3b, v10
	v_fmac_f32_e32 v71, 0x32a5705f, v9
	v_sub_f32_e32 v30, v30, v72
	v_exp_f32_e32 v23, v23
	v_ldexp_f32 v24, v24, v68
	v_cndmask_b32_e32 v6, 0x7f800000, v26, vcc_lo
	v_cndmask_b32_e64 v22, v22, v29, s3
	v_cmp_ngt_f32_e32 vcc_lo, 0xc2ce8ed0, v7
	v_fma_f32 v73, 0x3fb8aa3b, v10, -v31
	v_rndne_f32_e32 v74, v31
	v_cvt_i32_f32_e32 v70, v70
	v_add_f32_e32 v26, v30, v71
	v_cndmask_b32_e32 v24, 0, v24, vcc_lo
	v_add_f32_e32 v29, v22, v6
	v_cmp_nlt_f32_e32 vcc_lo, 0x42b17218, v7
	v_mul_f32_e32 v32, 0x3fb8aa3b, v11
	;; [unrolled: 15-line block ×7, first 2 shown]
	v_fmac_f32_e32 v83, 0x32a5705f, v15
	v_sub_f32_e32 v27, v53, v84
	v_exp_f32_e32 v23, v23
	v_ldexp_f32 v24, v24, v28
	v_cndmask_b32_e32 v12, 0x7f800000, v25, vcc_lo
	v_cndmask_b32_e64 v22, v22, v26, s9
	v_cmp_ngt_f32_e32 vcc_lo, 0xc2ce8ed0, v13
	v_fma_f32 v85, 0x3fb8aa3b, v16, -v54
	v_rndne_f32_e32 v86, v54
	v_cvt_i32_f32_e32 v30, v82
	v_add_f32_e32 v25, v27, v83
	v_cndmask_b32_e32 v24, 0, v24, vcc_lo
	v_add_f32_e32 v27, v22, v12
	v_cmp_nlt_f32_e32 vcc_lo, 0x42b17218, v13
	v_fmac_f32_e32 v85, 0x32a5705f, v16
	v_sub_f32_e32 v26, v54, v86
	v_exp_f32_e32 v25, v25
	v_ldexp_f32 v23, v23, v30
	v_cndmask_b32_e32 v13, 0x7f800000, v24, vcc_lo
	v_cndmask_b32_e64 v22, v22, v27, s10
	v_cmp_ngt_f32_e32 vcc_lo, 0xc2ce8ed0, v14
	v_add_f32_e32 v24, v26, v85
	v_cvt_i32_f32_e32 v26, v84
	v_cndmask_b32_e64 v2, 0, v2, s0
	v_add_f32_e32 v27, v22, v13
	v_cndmask_b32_e32 v23, 0, v23, vcc_lo
	v_cmp_nlt_f32_e32 vcc_lo, 0x42b17218, v14
	v_exp_f32_e32 v24, v24
	v_ldexp_f32 v25, v25, v26
	v_cndmask_b32_e64 v22, v22, v27, s11
	v_cndmask_b32_e64 v3, 0, v3, s1
	v_cndmask_b32_e32 v14, 0x7f800000, v23, vcc_lo
	v_cmp_ngt_f32_e32 vcc_lo, 0xc2ce8ed0, v15
	v_cvt_i32_f32_e32 v23, v86
	v_cndmask_b32_e64 v4, 0, v4, s2
	v_cndmask_b32_e64 v5, 0, v5, s3
	v_add_f32_e32 v26, v22, v14
	v_cndmask_b32_e32 v25, 0, v25, vcc_lo
	v_cmp_nlt_f32_e32 vcc_lo, 0x42b17218, v15
	v_ldexp_f32 v23, v24, v23
	v_cndmask_b32_e64 v6, 0, v6, s4
	v_cndmask_b32_e64 v22, v22, v26, s12
	;; [unrolled: 1-line block ×3, first 2 shown]
	v_cndmask_b32_e32 v15, 0x7f800000, v25, vcc_lo
	v_cmp_ngt_f32_e32 vcc_lo, 0xc2ce8ed0, v16
	v_cndmask_b32_e64 v8, 0, v8, s6
	v_cndmask_b32_e64 v9, 0, v9, s7
	;; [unrolled: 1-line block ×3, first 2 shown]
	v_add_f32_e32 v24, v22, v15
	v_cndmask_b32_e32 v23, 0, v23, vcc_lo
	v_cmp_nlt_f32_e32 vcc_lo, 0x42b17218, v16
	v_cndmask_b32_e64 v11, 0, v11, s9
	v_cndmask_b32_e64 v12, 0, v12, s10
	;; [unrolled: 1-line block ×4, first 2 shown]
	v_cndmask_b32_e32 v16, 0x7f800000, v23, vcc_lo
	v_cndmask_b32_e64 v14, 0, v14, s12
	v_cndmask_b32_e64 v15, 0, v15, s13
	v_add_f32_e32 v23, v22, v16
	v_cndmask_b32_e64 v16, 0, v16, s14
	v_cndmask_b32_e64 v22, v22, v23, s14
	ds_bpermute_b32 v17, v17, v22
	s_waitcnt lgkmcnt(0)
	v_add_f32_e32 v17, v22, v17
	ds_bpermute_b32 v18, v18, v17
	s_waitcnt lgkmcnt(0)
	v_add_f32_e32 v17, v17, v18
	;; [unrolled: 3-line block ×5, first 2 shown]
	v_div_scale_f32 v18, null, v17, v17, 1.0
	v_div_scale_f32 v21, vcc_lo, 1.0, v17, 1.0
	v_rcp_f32_e32 v19, v18
	v_fma_f32 v20, -v18, v19, 1.0
	v_fmac_f32_e32 v19, v20, v19
	v_mul_f32_e32 v20, v21, v19
	v_fma_f32 v22, -v18, v20, v21
	v_fmac_f32_e32 v20, v22, v19
	v_fma_f32 v18, -v18, v20, v21
	v_div_fmas_f32 v18, v18, v19, v20
	v_div_fixup_f32 v17, v18, v17, 1.0
	v_mul_f32_e32 v18, v1, v17
	v_mul_f32_e32 v19, v2, v17
	v_mul_f32_e32 v20, v3, v17
	v_mul_f32_e32 v21, v4, v17
	v_mul_f32_e32 v22, v5, v17
	v_mul_f32_e32 v23, v6, v17
	v_mul_f32_e32 v24, v7, v17
	v_mul_f32_e32 v25, v8, v17
	v_mul_f32_e32 v26, v9, v17
	v_mul_f32_e32 v27, v10, v17
	v_mul_f32_e32 v28, v11, v17
	v_mul_f32_e32 v29, v12, v17
	v_mul_f32_e32 v30, v13, v17
	v_mul_f32_e32 v31, v14, v17
	v_mul_f32_e32 v32, v15, v17
	v_mul_f32_e32 v17, v16, v17
	v_cndmask_b32_e64 v1, v1, v18, s15
	v_cndmask_b32_e64 v2, v2, v19, s0
	;; [unrolled: 1-line block ×16, first 2 shown]
.LBB9_42:
	v_mul_lo_u32 v17, v34, s25
	s_mov_b32 s0, exec_lo
	v_ashrrev_i32_e32 v18, 31, v17
	v_lshlrev_b64 v[17:18], 2, v[17:18]
	v_add_co_u32 v17, vcc_lo, s18, v17
	v_add_co_ci_u32_e64 v18, null, s19, v18, vcc_lo
	v_cmpx_gt_i32_e64 s25, v0
	s_cbranch_execnz .LBB9_60
; %bb.43:
	s_or_b32 exec_lo, exec_lo, s0
	s_mov_b32 s0, exec_lo
	v_cmpx_gt_i32_e64 s25, v52
	s_cbranch_execnz .LBB9_61
.LBB9_44:
	s_or_b32 exec_lo, exec_lo, s0
	s_mov_b32 s0, exec_lo
	v_cmpx_gt_i32_e64 s25, v51
	s_cbranch_execnz .LBB9_62
.LBB9_45:
	s_or_b32 exec_lo, exec_lo, s0
	s_mov_b32 s0, exec_lo
	v_cmpx_gt_i32_e64 s25, v50
	s_cbranch_execnz .LBB9_63
.LBB9_46:
	s_or_b32 exec_lo, exec_lo, s0
	s_mov_b32 s0, exec_lo
	v_cmpx_gt_i32_e64 s25, v49
	s_cbranch_execnz .LBB9_64
.LBB9_47:
	s_or_b32 exec_lo, exec_lo, s0
	s_mov_b32 s0, exec_lo
	v_cmpx_gt_i32_e64 s25, v48
	s_cbranch_execnz .LBB9_65
.LBB9_48:
	s_or_b32 exec_lo, exec_lo, s0
	s_mov_b32 s0, exec_lo
	v_cmpx_gt_i32_e64 s25, v47
	s_cbranch_execnz .LBB9_66
.LBB9_49:
	s_or_b32 exec_lo, exec_lo, s0
	s_mov_b32 s0, exec_lo
	v_cmpx_gt_i32_e64 s25, v46
	s_cbranch_execnz .LBB9_67
.LBB9_50:
	s_or_b32 exec_lo, exec_lo, s0
	s_mov_b32 s0, exec_lo
	v_cmpx_gt_i32_e64 s25, v45
	s_cbranch_execnz .LBB9_68
.LBB9_51:
	s_or_b32 exec_lo, exec_lo, s0
	s_mov_b32 s0, exec_lo
	v_cmpx_gt_i32_e64 s25, v44
	s_cbranch_execnz .LBB9_69
.LBB9_52:
	s_or_b32 exec_lo, exec_lo, s0
	s_mov_b32 s0, exec_lo
	v_cmpx_gt_i32_e64 s25, v43
	s_cbranch_execnz .LBB9_70
.LBB9_53:
	s_or_b32 exec_lo, exec_lo, s0
	s_mov_b32 s0, exec_lo
	v_cmpx_gt_i32_e64 s25, v42
	s_cbranch_execnz .LBB9_71
.LBB9_54:
	s_or_b32 exec_lo, exec_lo, s0
	s_mov_b32 s0, exec_lo
	v_cmpx_gt_i32_e64 s25, v41
	s_cbranch_execnz .LBB9_72
.LBB9_55:
	s_or_b32 exec_lo, exec_lo, s0
	s_mov_b32 s0, exec_lo
	v_cmpx_gt_i32_e64 s25, v40
	s_cbranch_execnz .LBB9_73
.LBB9_56:
	s_or_b32 exec_lo, exec_lo, s0
	s_mov_b32 s0, exec_lo
	v_cmpx_gt_i32_e64 s25, v39
	s_cbranch_execnz .LBB9_74
.LBB9_57:
	s_or_b32 exec_lo, exec_lo, s0
	v_cmp_gt_i32_e32 vcc_lo, s25, v38
	s_and_b32 exec_lo, exec_lo, vcc_lo
	s_cbranch_execz .LBB9_59
.LBB9_58:
	v_add_co_u32 v0, vcc_lo, v17, v37
	v_add_co_ci_u32_e64 v1, null, 0, v18, vcc_lo
	v_mul_f32_e32 v2, s27, v16
	global_store_dword v[0:1], v2, off offset:1920
.LBB9_59:
	s_endpgm
.LBB9_60:
	v_add_co_u32 v19, vcc_lo, v17, v37
	v_add_co_ci_u32_e64 v20, null, 0, v18, vcc_lo
	v_mul_f32_e32 v0, s27, v1
	global_store_dword v[19:20], v0, off
	s_or_b32 exec_lo, exec_lo, s0
	s_mov_b32 s0, exec_lo
	v_cmpx_gt_i32_e64 s25, v52
	s_cbranch_execz .LBB9_44
.LBB9_61:
	v_add_co_u32 v0, vcc_lo, v17, v37
	v_add_co_ci_u32_e64 v1, null, 0, v18, vcc_lo
	v_mul_f32_e32 v2, s27, v2
	global_store_dword v[0:1], v2, off offset:128
	s_or_b32 exec_lo, exec_lo, s0
	s_mov_b32 s0, exec_lo
	v_cmpx_gt_i32_e64 s25, v51
	s_cbranch_execz .LBB9_45
.LBB9_62:
	v_add_co_u32 v0, vcc_lo, v17, v37
	v_add_co_ci_u32_e64 v1, null, 0, v18, vcc_lo
	v_mul_f32_e32 v2, s27, v3
	global_store_dword v[0:1], v2, off offset:256
	s_or_b32 exec_lo, exec_lo, s0
	s_mov_b32 s0, exec_lo
	v_cmpx_gt_i32_e64 s25, v50
	s_cbranch_execz .LBB9_46
.LBB9_63:
	v_add_co_u32 v0, vcc_lo, v17, v37
	v_add_co_ci_u32_e64 v1, null, 0, v18, vcc_lo
	v_mul_f32_e32 v2, s27, v4
	global_store_dword v[0:1], v2, off offset:384
	s_or_b32 exec_lo, exec_lo, s0
	s_mov_b32 s0, exec_lo
	v_cmpx_gt_i32_e64 s25, v49
	s_cbranch_execz .LBB9_47
.LBB9_64:
	v_add_co_u32 v0, vcc_lo, v17, v37
	v_add_co_ci_u32_e64 v1, null, 0, v18, vcc_lo
	v_mul_f32_e32 v2, s27, v5
	global_store_dword v[0:1], v2, off offset:512
	s_or_b32 exec_lo, exec_lo, s0
	s_mov_b32 s0, exec_lo
	v_cmpx_gt_i32_e64 s25, v48
	s_cbranch_execz .LBB9_48
.LBB9_65:
	v_add_co_u32 v0, vcc_lo, v17, v37
	v_add_co_ci_u32_e64 v1, null, 0, v18, vcc_lo
	v_mul_f32_e32 v2, s27, v6
	global_store_dword v[0:1], v2, off offset:640
	s_or_b32 exec_lo, exec_lo, s0
	s_mov_b32 s0, exec_lo
	v_cmpx_gt_i32_e64 s25, v47
	s_cbranch_execz .LBB9_49
.LBB9_66:
	v_add_co_u32 v0, vcc_lo, v17, v37
	v_add_co_ci_u32_e64 v1, null, 0, v18, vcc_lo
	v_mul_f32_e32 v2, s27, v7
	global_store_dword v[0:1], v2, off offset:768
	s_or_b32 exec_lo, exec_lo, s0
	s_mov_b32 s0, exec_lo
	v_cmpx_gt_i32_e64 s25, v46
	s_cbranch_execz .LBB9_50
.LBB9_67:
	v_add_co_u32 v0, vcc_lo, v17, v37
	v_add_co_ci_u32_e64 v1, null, 0, v18, vcc_lo
	v_mul_f32_e32 v2, s27, v8
	global_store_dword v[0:1], v2, off offset:896
	s_or_b32 exec_lo, exec_lo, s0
	s_mov_b32 s0, exec_lo
	v_cmpx_gt_i32_e64 s25, v45
	s_cbranch_execz .LBB9_51
.LBB9_68:
	v_add_co_u32 v0, vcc_lo, v17, v37
	v_add_co_ci_u32_e64 v1, null, 0, v18, vcc_lo
	v_mul_f32_e32 v2, s27, v9
	global_store_dword v[0:1], v2, off offset:1024
	s_or_b32 exec_lo, exec_lo, s0
	s_mov_b32 s0, exec_lo
	v_cmpx_gt_i32_e64 s25, v44
	s_cbranch_execz .LBB9_52
.LBB9_69:
	v_add_co_u32 v0, vcc_lo, v17, v37
	v_add_co_ci_u32_e64 v1, null, 0, v18, vcc_lo
	v_mul_f32_e32 v2, s27, v10
	global_store_dword v[0:1], v2, off offset:1152
	s_or_b32 exec_lo, exec_lo, s0
	s_mov_b32 s0, exec_lo
	v_cmpx_gt_i32_e64 s25, v43
	s_cbranch_execz .LBB9_53
.LBB9_70:
	v_add_co_u32 v0, vcc_lo, v17, v37
	v_add_co_ci_u32_e64 v1, null, 0, v18, vcc_lo
	v_mul_f32_e32 v2, s27, v11
	global_store_dword v[0:1], v2, off offset:1280
	s_or_b32 exec_lo, exec_lo, s0
	s_mov_b32 s0, exec_lo
	v_cmpx_gt_i32_e64 s25, v42
	s_cbranch_execz .LBB9_54
.LBB9_71:
	v_add_co_u32 v0, vcc_lo, v17, v37
	v_add_co_ci_u32_e64 v1, null, 0, v18, vcc_lo
	v_mul_f32_e32 v2, s27, v12
	global_store_dword v[0:1], v2, off offset:1408
	s_or_b32 exec_lo, exec_lo, s0
	s_mov_b32 s0, exec_lo
	v_cmpx_gt_i32_e64 s25, v41
	s_cbranch_execz .LBB9_55
.LBB9_72:
	v_add_co_u32 v0, vcc_lo, v17, v37
	v_add_co_ci_u32_e64 v1, null, 0, v18, vcc_lo
	v_mul_f32_e32 v2, s27, v13
	global_store_dword v[0:1], v2, off offset:1536
	s_or_b32 exec_lo, exec_lo, s0
	s_mov_b32 s0, exec_lo
	v_cmpx_gt_i32_e64 s25, v40
	s_cbranch_execz .LBB9_56
.LBB9_73:
	v_add_co_u32 v0, vcc_lo, v17, v37
	v_add_co_ci_u32_e64 v1, null, 0, v18, vcc_lo
	v_mul_f32_e32 v2, s27, v14
	global_store_dword v[0:1], v2, off offset:1664
	s_or_b32 exec_lo, exec_lo, s0
	s_mov_b32 s0, exec_lo
	v_cmpx_gt_i32_e64 s25, v39
	s_cbranch_execz .LBB9_57
.LBB9_74:
	v_add_co_u32 v0, vcc_lo, v17, v37
	v_add_co_ci_u32_e64 v1, null, 0, v18, vcc_lo
	v_mul_f32_e32 v2, s27, v15
	global_store_dword v[0:1], v2, off offset:1792
	s_or_b32 exec_lo, exec_lo, s0
	v_cmp_gt_i32_e32 vcc_lo, s25, v38
	s_and_b32 exec_lo, exec_lo, vcc_lo
	s_cbranch_execnz .LBB9_58
	s_branch .LBB9_59
	.section	.rodata,"a",@progbits
	.p2align	6, 0x0
	.amdhsa_kernel _Z13topk_moe_cudaILi512ELb1EEvPKfPfPiS2_iiff15topk_moe_config
		.amdhsa_group_segment_fixed_size 0
		.amdhsa_private_segment_fixed_size 0
		.amdhsa_kernarg_size 312
		.amdhsa_user_sgpr_count 6
		.amdhsa_user_sgpr_private_segment_buffer 1
		.amdhsa_user_sgpr_dispatch_ptr 0
		.amdhsa_user_sgpr_queue_ptr 0
		.amdhsa_user_sgpr_kernarg_segment_ptr 1
		.amdhsa_user_sgpr_dispatch_id 0
		.amdhsa_user_sgpr_flat_scratch_init 0
		.amdhsa_user_sgpr_private_segment_size 0
		.amdhsa_wavefront_size32 1
		.amdhsa_uses_dynamic_stack 0
		.amdhsa_system_sgpr_private_segment_wavefront_offset 0
		.amdhsa_system_sgpr_workgroup_id_x 1
		.amdhsa_system_sgpr_workgroup_id_y 0
		.amdhsa_system_sgpr_workgroup_id_z 0
		.amdhsa_system_sgpr_workgroup_info 0
		.amdhsa_system_vgpr_workitem_id 1
		.amdhsa_next_free_vgpr 92
		.amdhsa_next_free_sgpr 28
		.amdhsa_reserve_vcc 1
		.amdhsa_reserve_flat_scratch 0
		.amdhsa_float_round_mode_32 0
		.amdhsa_float_round_mode_16_64 0
		.amdhsa_float_denorm_mode_32 3
		.amdhsa_float_denorm_mode_16_64 3
		.amdhsa_dx10_clamp 1
		.amdhsa_ieee_mode 1
		.amdhsa_fp16_overflow 0
		.amdhsa_workgroup_processor_mode 1
		.amdhsa_memory_ordered 1
		.amdhsa_forward_progress 1
		.amdhsa_shared_vgpr_count 0
		.amdhsa_exception_fp_ieee_invalid_op 0
		.amdhsa_exception_fp_denorm_src 0
		.amdhsa_exception_fp_ieee_div_zero 0
		.amdhsa_exception_fp_ieee_overflow 0
		.amdhsa_exception_fp_ieee_underflow 0
		.amdhsa_exception_fp_ieee_inexact 0
		.amdhsa_exception_int_div_zero 0
	.end_amdhsa_kernel
	.section	.text._Z13topk_moe_cudaILi512ELb1EEvPKfPfPiS2_iiff15topk_moe_config,"axG",@progbits,_Z13topk_moe_cudaILi512ELb1EEvPKfPfPiS2_iiff15topk_moe_config,comdat
.Lfunc_end9:
	.size	_Z13topk_moe_cudaILi512ELb1EEvPKfPfPiS2_iiff15topk_moe_config, .Lfunc_end9-_Z13topk_moe_cudaILi512ELb1EEvPKfPfPiS2_iiff15topk_moe_config
                                        ; -- End function
	.set _Z13topk_moe_cudaILi512ELb1EEvPKfPfPiS2_iiff15topk_moe_config.num_vgpr, 92
	.set _Z13topk_moe_cudaILi512ELb1EEvPKfPfPiS2_iiff15topk_moe_config.num_agpr, 0
	.set _Z13topk_moe_cudaILi512ELb1EEvPKfPfPiS2_iiff15topk_moe_config.numbered_sgpr, 28
	.set _Z13topk_moe_cudaILi512ELb1EEvPKfPfPiS2_iiff15topk_moe_config.num_named_barrier, 0
	.set _Z13topk_moe_cudaILi512ELb1EEvPKfPfPiS2_iiff15topk_moe_config.private_seg_size, 0
	.set _Z13topk_moe_cudaILi512ELb1EEvPKfPfPiS2_iiff15topk_moe_config.uses_vcc, 1
	.set _Z13topk_moe_cudaILi512ELb1EEvPKfPfPiS2_iiff15topk_moe_config.uses_flat_scratch, 0
	.set _Z13topk_moe_cudaILi512ELb1EEvPKfPfPiS2_iiff15topk_moe_config.has_dyn_sized_stack, 0
	.set _Z13topk_moe_cudaILi512ELb1EEvPKfPfPiS2_iiff15topk_moe_config.has_recursion, 0
	.set _Z13topk_moe_cudaILi512ELb1EEvPKfPfPiS2_iiff15topk_moe_config.has_indirect_call, 0
	.section	.AMDGPU.csdata,"",@progbits
; Kernel info:
; codeLenInByte = 11824
; TotalNumSgprs: 30
; NumVgprs: 92
; ScratchSize: 0
; MemoryBound: 0
; FloatMode: 240
; IeeeMode: 1
; LDSByteSize: 0 bytes/workgroup (compile time only)
; SGPRBlocks: 0
; VGPRBlocks: 11
; NumSGPRsForWavesPerEU: 30
; NumVGPRsForWavesPerEU: 92
; Occupancy: 10
; WaveLimiterHint : 1
; COMPUTE_PGM_RSRC2:SCRATCH_EN: 0
; COMPUTE_PGM_RSRC2:USER_SGPR: 6
; COMPUTE_PGM_RSRC2:TRAP_HANDLER: 0
; COMPUTE_PGM_RSRC2:TGID_X_EN: 1
; COMPUTE_PGM_RSRC2:TGID_Y_EN: 0
; COMPUTE_PGM_RSRC2:TGID_Z_EN: 0
; COMPUTE_PGM_RSRC2:TIDIG_COMP_CNT: 1
	.section	.text._Z13topk_moe_cudaILi576ELb1EEvPKfPfPiS2_iiff15topk_moe_config,"axG",@progbits,_Z13topk_moe_cudaILi576ELb1EEvPKfPfPiS2_iiff15topk_moe_config,comdat
	.protected	_Z13topk_moe_cudaILi576ELb1EEvPKfPfPiS2_iiff15topk_moe_config ; -- Begin function _Z13topk_moe_cudaILi576ELb1EEvPKfPfPiS2_iiff15topk_moe_config
	.globl	_Z13topk_moe_cudaILi576ELb1EEvPKfPfPiS2_iiff15topk_moe_config
	.p2align	8
	.type	_Z13topk_moe_cudaILi576ELb1EEvPKfPfPiS2_iiff15topk_moe_config,@function
_Z13topk_moe_cudaILi576ELb1EEvPKfPfPiS2_iiff15topk_moe_config: ; @_Z13topk_moe_cudaILi576ELb1EEvPKfPfPiS2_iiff15topk_moe_config
; %bb.0:
	s_clause 0x1
	s_load_dword s0, s[4:5], 0x44
	s_load_dwordx4 s[24:27], s[4:5], 0x20
	s_waitcnt lgkmcnt(0)
	s_lshr_b32 s0, s0, 16
	v_mad_u64_u32 v[66:67], null, s6, s0, v[1:2]
	s_mov_b32 s0, exec_lo
	v_cmpx_gt_i32_e64 s24, v66
	s_cbranch_execz .LBB10_61
; %bb.1:
	s_load_dwordx8 s[16:23], s[4:5], 0x0
	v_mul_lo_u32 v1, 0x240, v66
	v_lshlrev_b32_e32 v67, 2, v0
	v_mov_b32_e32 v5, 0
	s_load_dword s0, s[4:5], 0x30
	v_ashrrev_i32_e32 v2, 31, v1
	v_lshlrev_b64 v[1:2], 2, v[1:2]
	s_waitcnt lgkmcnt(0)
	v_add_co_u32 v3, vcc_lo, s16, v1
	v_add_co_ci_u32_e64 v4, null, s17, v2, vcc_lo
	v_add_co_u32 v3, vcc_lo, v3, v67
	v_add_co_ci_u32_e64 v4, null, 0, v4, vcc_lo
	global_load_ushort v21, v5, s[4:5] offset:48
	s_clause 0x7
	global_load_dword v20, v[3:4], off
	global_load_dword v19, v[3:4], off offset:128
	global_load_dword v18, v[3:4], off offset:256
	;; [unrolled: 1-line block ×7, first 2 shown]
	v_add_co_u32 v22, vcc_lo, 0x800, v3
	v_add_co_ci_u32_e64 v23, null, 0, v4, vcc_lo
	s_clause 0x9
	global_load_dword v12, v[3:4], off offset:1024
	global_load_dword v11, v[3:4], off offset:1152
	;; [unrolled: 1-line block ×8, first 2 shown]
	global_load_dword v4, v[22:23], off
	global_load_dword v3, v[22:23], off offset:128
	s_waitcnt vmcnt(18)
	v_readfirstlane_b32 s1, v21
	s_and_b32 s4, 0xffff, s1
	s_bitcmp1_b32 s0, 16
	s_cselect_b32 s24, -1, 0
	s_and_b32 vcc_lo, exec_lo, s24
	s_cbranch_vccnz .LBB10_7
; %bb.2:
	v_and_b32_e32 v21, 1, v21
	v_cmp_eq_u32_e32 vcc_lo, 0, v21
	s_cbranch_vccz .LBB10_4
; %bb.3:
	s_waitcnt vmcnt(16)
	v_max3_f32 v21, v20, 0xff800000, v19
	v_mbcnt_lo_u32_b32 v25, -1, 0
	s_waitcnt vmcnt(14)
	v_max3_f32 v21, v21, v18, v17
	v_xor_b32_e32 v22, 16, v25
	v_xor_b32_e32 v24, 8, v25
	s_waitcnt vmcnt(12)
	v_max3_f32 v21, v21, v16, v15
	v_cmp_gt_i32_e32 vcc_lo, 32, v22
	s_waitcnt vmcnt(10)
	v_max3_f32 v21, v21, v14, v13
	v_cndmask_b32_e32 v22, v25, v22, vcc_lo
	v_cmp_gt_i32_e32 vcc_lo, 32, v24
	s_waitcnt vmcnt(8)
	v_max3_f32 v21, v21, v12, v11
	v_cndmask_b32_e32 v24, v25, v24, vcc_lo
	s_waitcnt vmcnt(6)
	v_max3_f32 v21, v21, v10, v9
	s_waitcnt vmcnt(4)
	v_max3_f32 v21, v21, v8, v7
	;; [unrolled: 2-line block ×3, first 2 shown]
	v_lshlrev_b32_e32 v21, 2, v22
	s_waitcnt vmcnt(0)
	v_max3_f32 v23, v23, v4, v3
	ds_bpermute_b32 v22, v21, v23
	s_waitcnt lgkmcnt(0)
	v_max_f32_e32 v26, v22, v22
	v_lshlrev_b32_e32 v22, 2, v24
	v_max_f32_e32 v24, v23, v26
	v_xor_b32_e32 v26, 4, v25
	ds_bpermute_b32 v23, v22, v24
	v_cmp_gt_i32_e32 vcc_lo, 32, v26
	v_cndmask_b32_e32 v26, v25, v26, vcc_lo
	s_waitcnt lgkmcnt(0)
	v_max_f32_e32 v27, v23, v23
	v_lshlrev_b32_e32 v23, 2, v26
	v_max_f32_e32 v26, v24, v27
	v_xor_b32_e32 v27, 2, v25
	ds_bpermute_b32 v24, v23, v26
	v_cmp_gt_i32_e32 vcc_lo, 32, v27
	v_cndmask_b32_e32 v27, v25, v27, vcc_lo
	;; [unrolled: 8-line block ×3, first 2 shown]
	v_lshlrev_b32_e32 v25, 2, v25
	s_waitcnt lgkmcnt(0)
	v_max_f32_e32 v27, v27, v27
	v_max_f32_e32 v26, v26, v27
	ds_bpermute_b32 v27, v25, v26
	s_waitcnt lgkmcnt(0)
	v_max_f32_e32 v27, v27, v27
	v_max_f32_e32 v29, v26, v27
	v_sub_f32_e32 v26, v20, v29
	v_sub_f32_e32 v27, v19, v29
	;; [unrolled: 1-line block ×5, first 2 shown]
	v_mul_f32_e32 v44, 0x3fb8aa3b, v26
	v_mul_f32_e32 v45, 0x3fb8aa3b, v27
	;; [unrolled: 1-line block ×4, first 2 shown]
	v_cmp_ngt_f32_e32 vcc_lo, 0xc2ce8ed0, v26
	v_fma_f32 v62, 0x3fb8aa3b, v26, -v44
	v_rndne_f32_e32 v63, v44
	v_fma_f32 v64, 0x3fb8aa3b, v27, -v45
	v_rndne_f32_e32 v65, v45
	v_fma_f32 v68, 0x3fb8aa3b, v28, -v46
	v_fmac_f32_e32 v62, 0x32a5705f, v26
	v_sub_f32_e32 v44, v44, v63
	v_rndne_f32_e32 v69, v46
	v_fmac_f32_e32 v64, 0x32a5705f, v27
	v_sub_f32_e32 v45, v45, v65
	v_fmac_f32_e32 v68, 0x32a5705f, v28
	v_add_f32_e32 v44, v44, v62
	v_sub_f32_e32 v46, v46, v69
	v_cvt_i32_f32_e32 v63, v63
	v_add_f32_e32 v45, v45, v64
	v_fma_f32 v70, 0x3fb8aa3b, v30, -v47
	v_exp_f32_e32 v44, v44
	v_add_f32_e32 v46, v46, v68
	v_rndne_f32_e32 v71, v47
	v_exp_f32_e32 v45, v45
	v_cvt_i32_f32_e32 v65, v65
	v_mul_f32_e32 v48, 0x3fb8aa3b, v31
	v_exp_f32_e32 v46, v46
	v_fmac_f32_e32 v70, 0x32a5705f, v30
	v_sub_f32_e32 v47, v47, v71
	v_cvt_i32_f32_e32 v69, v69
	v_ldexp_f32 v44, v44, v63
	v_sub_f32_e32 v32, v15, v29
	v_fma_f32 v72, 0x3fb8aa3b, v31, -v48
	v_ldexp_f32 v45, v45, v65
	v_rndne_f32_e32 v73, v48
	v_cndmask_b32_e32 v44, 0, v44, vcc_lo
	v_cmp_ngt_f32_e32 vcc_lo, 0xc2ce8ed0, v27
	v_add_f32_e32 v47, v47, v70
	v_ldexp_f32 v46, v46, v69
	v_mul_f32_e32 v49, 0x3fb8aa3b, v32
	v_fmac_f32_e32 v72, 0x32a5705f, v31
	v_cndmask_b32_e32 v45, 0, v45, vcc_lo
	v_cmp_ngt_f32_e32 vcc_lo, 0xc2ce8ed0, v28
	v_sub_f32_e32 v48, v48, v73
	v_exp_f32_e32 v47, v47
	v_sub_f32_e32 v33, v14, v29
	v_fma_f32 v74, 0x3fb8aa3b, v32, -v49
	v_cndmask_b32_e32 v46, 0, v46, vcc_lo
	v_cmp_nlt_f32_e32 vcc_lo, 0x42b17218, v26
	v_rndne_f32_e32 v75, v49
	v_cvt_i32_f32_e32 v71, v71
	v_add_f32_e32 v48, v48, v72
	v_mul_f32_e32 v50, 0x3fb8aa3b, v33
	v_cndmask_b32_e32 v26, 0x7f800000, v44, vcc_lo
	v_cmp_nlt_f32_e32 vcc_lo, 0x42b17218, v27
	v_fmac_f32_e32 v74, 0x32a5705f, v32
	v_sub_f32_e32 v49, v49, v75
	v_exp_f32_e32 v48, v48
	v_ldexp_f32 v47, v47, v71
	v_cndmask_b32_e32 v27, 0x7f800000, v45, vcc_lo
	v_cmp_ngt_f32_e32 vcc_lo, 0xc2ce8ed0, v30
	v_sub_f32_e32 v34, v13, v29
	v_fma_f32 v76, 0x3fb8aa3b, v33, -v50
	v_rndne_f32_e32 v77, v50
	v_cvt_i32_f32_e32 v73, v73
	v_add_f32_e32 v49, v49, v74
	v_cndmask_b32_e32 v44, 0, v47, vcc_lo
	v_cmp_nlt_f32_e32 vcc_lo, 0x42b17218, v28
	v_mul_f32_e32 v51, 0x3fb8aa3b, v34
	v_fmac_f32_e32 v76, 0x32a5705f, v33
	v_sub_f32_e32 v50, v50, v77
	v_exp_f32_e32 v49, v49
	v_ldexp_f32 v48, v48, v73
	v_cndmask_b32_e32 v28, 0x7f800000, v46, vcc_lo
	v_cmp_ngt_f32_e32 vcc_lo, 0xc2ce8ed0, v31
	v_sub_f32_e32 v35, v12, v29
	v_fma_f32 v78, 0x3fb8aa3b, v34, -v51
	v_rndne_f32_e32 v79, v51
	v_cvt_i32_f32_e32 v75, v75
	v_add_f32_e32 v50, v50, v76
	v_cndmask_b32_e32 v46, 0, v48, vcc_lo
	v_cmp_nlt_f32_e32 vcc_lo, 0x42b17218, v30
	v_mul_f32_e32 v52, 0x3fb8aa3b, v35
	v_fmac_f32_e32 v78, 0x32a5705f, v34
	v_sub_f32_e32 v51, v51, v79
	v_exp_f32_e32 v50, v50
	v_ldexp_f32 v49, v49, v75
	v_add_f32_e32 v45, v26, v27
	v_cndmask_b32_e32 v30, 0x7f800000, v44, vcc_lo
	v_cmp_ngt_f32_e32 vcc_lo, 0xc2ce8ed0, v32
	v_sub_f32_e32 v36, v11, v29
	v_fma_f32 v80, 0x3fb8aa3b, v35, -v52
	v_rndne_f32_e32 v81, v52
	v_cvt_i32_f32_e32 v77, v77
	v_add_f32_e32 v51, v51, v78
	v_add_f32_e32 v44, v28, v45
	v_cndmask_b32_e32 v45, 0, v49, vcc_lo
	v_cmp_nlt_f32_e32 vcc_lo, 0x42b17218, v31
	v_mul_f32_e32 v53, 0x3fb8aa3b, v36
	v_fmac_f32_e32 v80, 0x32a5705f, v35
	v_sub_f32_e32 v52, v52, v81
	v_exp_f32_e32 v51, v51
	v_ldexp_f32 v50, v50, v77
	v_cndmask_b32_e32 v31, 0x7f800000, v46, vcc_lo
	v_cmp_ngt_f32_e32 vcc_lo, 0xc2ce8ed0, v33
	v_sub_f32_e32 v37, v10, v29
	v_fma_f32 v82, 0x3fb8aa3b, v36, -v53
	v_rndne_f32_e32 v83, v53
	v_cvt_i32_f32_e32 v79, v79
	v_add_f32_e32 v52, v52, v80
	v_cndmask_b32_e32 v46, 0, v50, vcc_lo
	v_cmp_nlt_f32_e32 vcc_lo, 0x42b17218, v32
	v_mul_f32_e32 v54, 0x3fb8aa3b, v37
	v_fmac_f32_e32 v82, 0x32a5705f, v36
	v_sub_f32_e32 v53, v53, v83
	v_exp_f32_e32 v52, v52
	v_ldexp_f32 v51, v51, v79
	v_cndmask_b32_e32 v32, 0x7f800000, v45, vcc_lo
	v_cmp_ngt_f32_e32 vcc_lo, 0xc2ce8ed0, v34
	v_sub_f32_e32 v38, v9, v29
	v_fma_f32 v84, 0x3fb8aa3b, v37, -v54
	v_rndne_f32_e32 v85, v54
	v_cvt_i32_f32_e32 v81, v81
	;; [unrolled: 14-line block ×6, first 2 shown]
	v_add_f32_e32 v57, v57, v90
	v_cndmask_b32_e32 v45, 0, v55, vcc_lo
	v_cmp_nlt_f32_e32 vcc_lo, 0x42b17218, v37
	v_mul_f32_e32 v59, 0x3fb8aa3b, v42
	v_fmac_f32_e32 v92, 0x32a5705f, v41
	v_sub_f32_e32 v58, v58, v93
	v_exp_f32_e32 v57, v57
	v_ldexp_f32 v56, v56, v89
	v_add_f32_e32 v44, v30, v44
	v_cndmask_b32_e32 v37, 0x7f800000, v46, vcc_lo
	v_cmp_ngt_f32_e32 vcc_lo, 0xc2ce8ed0, v39
	v_sub_f32_e32 v43, v4, v29
	v_fma_f32 v94, 0x3fb8aa3b, v42, -v59
	v_rndne_f32_e32 v95, v59
	v_cvt_i32_f32_e32 v91, v91
	v_add_f32_e32 v58, v58, v92
	v_add_f32_e32 v44, v31, v44
	v_cndmask_b32_e32 v46, 0, v56, vcc_lo
	v_cmp_nlt_f32_e32 vcc_lo, 0x42b17218, v38
	v_mul_f32_e32 v60, 0x3fb8aa3b, v43
	v_fmac_f32_e32 v94, 0x32a5705f, v42
	v_sub_f32_e32 v59, v59, v95
	v_exp_f32_e32 v58, v58
	v_ldexp_f32 v57, v57, v91
	v_add_f32_e32 v44, v32, v44
	v_cndmask_b32_e32 v38, 0x7f800000, v45, vcc_lo
	v_cmp_ngt_f32_e32 vcc_lo, 0xc2ce8ed0, v40
	v_sub_f32_e32 v29, v3, v29
	v_fma_f32 v96, 0x3fb8aa3b, v43, -v60
	v_rndne_f32_e32 v97, v60
	v_cvt_i32_f32_e32 v93, v93
	v_add_f32_e32 v59, v59, v94
	v_add_f32_e32 v44, v33, v44
	v_cndmask_b32_e32 v45, 0, v57, vcc_lo
	v_cmp_nlt_f32_e32 vcc_lo, 0x42b17218, v39
	v_mul_f32_e32 v61, 0x3fb8aa3b, v29
	v_fmac_f32_e32 v96, 0x32a5705f, v43
	v_sub_f32_e32 v60, v60, v97
	v_exp_f32_e32 v59, v59
	v_ldexp_f32 v58, v58, v93
	v_add_f32_e32 v44, v34, v44
	v_cndmask_b32_e32 v39, 0x7f800000, v46, vcc_lo
	v_cmp_ngt_f32_e32 vcc_lo, 0xc2ce8ed0, v41
	v_fma_f32 v98, 0x3fb8aa3b, v29, -v61
	v_rndne_f32_e32 v99, v61
	v_cvt_i32_f32_e32 v95, v95
	v_add_f32_e32 v60, v60, v96
	v_add_f32_e32 v44, v35, v44
	v_cndmask_b32_e32 v46, 0, v58, vcc_lo
	v_cmp_nlt_f32_e32 vcc_lo, 0x42b17218, v40
	v_fmac_f32_e32 v98, 0x32a5705f, v29
	v_sub_f32_e32 v61, v61, v99
	v_exp_f32_e32 v60, v60
	v_ldexp_f32 v59, v59, v95
	v_add_f32_e32 v44, v36, v44
	v_cndmask_b32_e32 v40, 0x7f800000, v45, vcc_lo
	v_cmp_ngt_f32_e32 vcc_lo, 0xc2ce8ed0, v42
	v_cvt_i32_f32_e32 v97, v97
	v_add_f32_e32 v61, v61, v98
	v_add_f32_e32 v44, v37, v44
	v_cvt_i32_f32_e32 v99, v99
	v_cndmask_b32_e32 v45, 0, v59, vcc_lo
	v_cmp_nlt_f32_e32 vcc_lo, 0x42b17218, v41
	v_exp_f32_e32 v61, v61
	v_ldexp_f32 v60, v60, v97
	v_add_f32_e32 v44, v38, v44
	v_cndmask_b32_e32 v41, 0x7f800000, v46, vcc_lo
	v_cmp_ngt_f32_e32 vcc_lo, 0xc2ce8ed0, v43
	v_add_f32_e32 v44, v39, v44
	v_cndmask_b32_e32 v46, 0, v60, vcc_lo
	v_cmp_nlt_f32_e32 vcc_lo, 0x42b17218, v42
	v_ldexp_f32 v61, v61, v99
	v_add_f32_e32 v44, v40, v44
	v_cndmask_b32_e32 v42, 0x7f800000, v45, vcc_lo
	v_cmp_ngt_f32_e32 vcc_lo, 0xc2ce8ed0, v29
	v_add_f32_e32 v44, v41, v44
	v_cndmask_b32_e32 v45, 0, v61, vcc_lo
	v_cmp_nlt_f32_e32 vcc_lo, 0x42b17218, v43
	v_add_f32_e32 v44, v42, v44
	v_cndmask_b32_e32 v43, 0x7f800000, v46, vcc_lo
	v_cmp_nlt_f32_e32 vcc_lo, 0x42b17218, v29
	v_add_f32_e32 v29, v43, v44
	v_cndmask_b32_e32 v45, 0x7f800000, v45, vcc_lo
	v_add_f32_e32 v29, v45, v29
	ds_bpermute_b32 v21, v21, v29
	s_waitcnt lgkmcnt(0)
	v_add_f32_e32 v21, v29, v21
	ds_bpermute_b32 v22, v22, v21
	s_waitcnt lgkmcnt(0)
	;; [unrolled: 3-line block ×5, first 2 shown]
	v_add_f32_e32 v21, v21, v22
	v_div_scale_f32 v22, null, v21, v21, 1.0
	v_div_scale_f32 v25, vcc_lo, 1.0, v21, 1.0
	v_rcp_f32_e32 v23, v22
	v_fma_f32 v24, -v22, v23, 1.0
	v_fmac_f32_e32 v23, v24, v23
	v_mul_f32_e32 v24, v25, v23
	v_fma_f32 v29, -v22, v24, v25
	v_fmac_f32_e32 v24, v29, v23
	v_fma_f32 v22, -v22, v24, v25
	v_div_fmas_f32 v22, v22, v23, v24
	v_div_fixup_f32 v44, v22, v21, 1.0
	v_mul_f32_e32 v21, v26, v44
	v_mul_f32_e32 v22, v27, v44
	;; [unrolled: 1-line block ×18, first 2 shown]
	s_cbranch_execz .LBB10_5
	s_branch .LBB10_6
.LBB10_4:
                                        ; implicit-def: $vgpr34
                                        ; implicit-def: $vgpr35
                                        ; implicit-def: $vgpr36
                                        ; implicit-def: $vgpr37
                                        ; implicit-def: $vgpr38
                                        ; implicit-def: $vgpr31
                                        ; implicit-def: $vgpr32
                                        ; implicit-def: $vgpr33
                                        ; implicit-def: $vgpr30
                                        ; implicit-def: $vgpr29
                                        ; implicit-def: $vgpr28
                                        ; implicit-def: $vgpr26
                                        ; implicit-def: $vgpr27
                                        ; implicit-def: $vgpr25
                                        ; implicit-def: $vgpr24
                                        ; implicit-def: $vgpr23
                                        ; implicit-def: $vgpr22
                                        ; implicit-def: $vgpr21
.LBB10_5:
	s_waitcnt vmcnt(17)
	v_mul_f32_e32 v21, 0xbfb8aa3b, v20
	s_waitcnt vmcnt(16)
	v_mul_f32_e32 v22, 0xbfb8aa3b, v19
	;; [unrolled: 2-line block ×3, first 2 shown]
	v_cmp_nlt_f32_e32 vcc_lo, 0x42ce8ed0, v20
	s_waitcnt vmcnt(14)
	v_mul_f32_e32 v26, 0xbfb8aa3b, v17
	v_rndne_f32_e32 v24, v21
	v_fma_f32 v25, 0xbfb8aa3b, v20, -v21
	v_rndne_f32_e32 v27, v22
	v_fma_f32 v28, 0xbfb8aa3b, v19, -v22
	v_rndne_f32_e32 v30, v23
	v_sub_f32_e32 v21, v21, v24
	v_fmac_f32_e32 v25, 0xb2a5705f, v20
	v_sub_f32_e32 v22, v22, v27
	v_fmac_f32_e32 v28, 0xb2a5705f, v19
	v_cvt_i32_f32_e32 v24, v24
	v_rndne_f32_e32 v31, v26
	v_add_f32_e32 v21, v21, v25
	v_fma_f32 v25, 0xbfb8aa3b, v18, -v23
	v_add_f32_e32 v22, v22, v28
	v_sub_f32_e32 v23, v23, v30
	v_fma_f32 v28, 0xbfb8aa3b, v17, -v26
	v_exp_f32_e32 v21, v21
	v_fmac_f32_e32 v25, 0xb2a5705f, v18
	v_exp_f32_e32 v22, v22
	v_sub_f32_e32 v26, v26, v31
	v_fmac_f32_e32 v28, 0xb2a5705f, v17
	s_waitcnt vmcnt(13)
	v_mul_f32_e32 v29, 0xbfb8aa3b, v16
	v_add_f32_e32 v23, v23, v25
	v_cvt_i32_f32_e32 v25, v27
	v_cmp_nlt_f32_e64 s0, 0x42ce8ed0, v17
	v_cmp_ngt_f32_e64 s1, 0xc2b17218, v17
	v_ldexp_f32 v21, v21, v24
	v_exp_f32_e32 v23, v23
	v_ldexp_f32 v22, v22, v25
	v_cvt_i32_f32_e32 v24, v30
	v_add_f32_e32 v25, v26, v28
	v_cndmask_b32_e32 v21, 0, v21, vcc_lo
	v_cmp_nlt_f32_e32 vcc_lo, 0x42ce8ed0, v19
	v_rndne_f32_e32 v32, v29
	v_cvt_i32_f32_e32 v26, v31
	v_cndmask_b32_e32 v22, 0, v22, vcc_lo
	v_cmp_ngt_f32_e32 vcc_lo, 0xc2b17218, v20
	v_sub_f32_e32 v28, v29, v32
	v_cndmask_b32_e32 v20, 0x7f800000, v21, vcc_lo
	v_cmp_ngt_f32_e32 vcc_lo, 0xc2b17218, v19
	v_ldexp_f32 v21, v23, v24
	v_add_f32_e32 v20, 1.0, v20
	v_cndmask_b32_e32 v19, 0x7f800000, v22, vcc_lo
	v_cmp_nlt_f32_e32 vcc_lo, 0x42ce8ed0, v18
	v_exp_f32_e32 v22, v25
	v_fma_f32 v25, 0xbfb8aa3b, v16, -v29
	v_div_scale_f32 v23, null, v20, v20, 1.0
	v_cndmask_b32_e32 v21, 0, v21, vcc_lo
	v_add_f32_e32 v19, 1.0, v19
	v_cmp_ngt_f32_e32 vcc_lo, 0xc2b17218, v18
	v_rcp_f32_e32 v24, v23
	v_fmac_f32_e32 v25, 0xb2a5705f, v16
	v_ldexp_f32 v22, v22, v26
	v_cndmask_b32_e32 v18, 0x7f800000, v21, vcc_lo
	v_div_scale_f32 v21, null, v19, v19, 1.0
	v_div_scale_f32 v30, vcc_lo, 1.0, v20, 1.0
	v_add_f32_e32 v18, 1.0, v18
	v_rcp_f32_e32 v27, v21
	v_fma_f32 v26, -v23, v24, 1.0
	v_cndmask_b32_e64 v22, 0, v22, s0
	v_add_f32_e32 v25, v28, v25
	v_div_scale_f32 v29, null, v18, v18, 1.0
	v_fmac_f32_e32 v24, v26, v24
	v_div_scale_f32 v26, s0, 1.0, v19, 1.0
	v_rcp_f32_e32 v31, v29
	v_fma_f32 v33, -v21, v27, 1.0
	v_cndmask_b32_e64 v17, 0x7f800000, v22, s1
	v_div_scale_f32 v36, s1, 1.0, v18, 1.0
	v_fmac_f32_e32 v27, v33, v27
	v_mul_f32_e32 v33, v30, v24
	v_add_f32_e32 v17, 1.0, v17
	v_fma_f32 v22, -v29, v31, 1.0
	v_mul_f32_e32 v34, v26, v27
	v_fma_f32 v35, -v23, v33, v30
	v_fmac_f32_e32 v31, v22, v31
	v_fma_f32 v22, -v21, v34, v26
	v_fmac_f32_e32 v33, v35, v24
	v_mul_f32_e32 v28, v36, v31
	v_fmac_f32_e32 v34, v22, v27
	v_fma_f32 v22, -v23, v33, v30
	v_exp_f32_e32 v23, v25
	v_div_scale_f32 v25, null, v17, v17, 1.0
	v_fma_f32 v26, -v21, v34, v26
	v_div_fmas_f32 v22, v22, v24, v33
	v_cvt_i32_f32_e32 v24, v32
	s_mov_b32 vcc_lo, s0
	v_rcp_f32_e32 v30, v25
	v_fma_f32 v32, -v29, v28, v36
	v_div_fixup_f32 v21, v22, v20, 1.0
	v_ldexp_f32 v20, v23, v24
	s_waitcnt vmcnt(12)
	v_mul_f32_e32 v22, 0xbfb8aa3b, v15
	v_div_fmas_f32 v23, v26, v27, v34
	v_cmp_nlt_f32_e32 vcc_lo, 0x42ce8ed0, v16
	v_fmac_f32_e32 v28, v32, v31
	v_rndne_f32_e32 v24, v22
	v_fma_f32 v26, 0xbfb8aa3b, v15, -v22
	v_cndmask_b32_e32 v20, 0, v20, vcc_lo
	v_cmp_ngt_f32_e32 vcc_lo, 0xc2b17218, v16
	v_fma_f32 v27, -v25, v30, 1.0
	v_fmac_f32_e32 v26, 0xb2a5705f, v15
	v_cndmask_b32_e32 v16, 0x7f800000, v20, vcc_lo
	v_sub_f32_e32 v20, v22, v24
	v_div_fixup_f32 v22, v23, v19, 1.0
	v_fma_f32 v19, -v29, v28, v36
	s_waitcnt vmcnt(11)
	v_mul_f32_e32 v29, 0xbfb8aa3b, v14
	s_mov_b32 vcc_lo, s1
	v_add_f32_e32 v20, v20, v26
	v_fmac_f32_e32 v30, v27, v30
	v_div_scale_f32 v26, s0, 1.0, v17, 1.0
	v_div_fmas_f32 v19, v19, v31, v28
	v_exp_f32_e32 v20, v20
	v_cvt_i32_f32_e32 v24, v24
	v_rndne_f32_e32 v32, v29
	v_fma_f32 v33, 0xbfb8aa3b, v14, -v29
	v_mul_f32_e32 v28, v26, v30
	v_div_fixup_f32 v23, v19, v18, 1.0
	v_cmp_nlt_f32_e32 vcc_lo, 0x42ce8ed0, v15
	v_sub_f32_e32 v19, v29, v32
	v_fmac_f32_e32 v33, 0xb2a5705f, v14
	v_fma_f32 v34, -v25, v28, v26
	v_ldexp_f32 v18, v20, v24
	v_add_f32_e32 v16, 1.0, v16
	v_add_f32_e32 v19, v19, v33
	v_fmac_f32_e32 v28, v34, v30
	v_cndmask_b32_e32 v18, 0, v18, vcc_lo
	v_cmp_ngt_f32_e32 vcc_lo, 0xc2b17218, v15
	v_div_scale_f32 v27, null, v16, v16, 1.0
	v_fma_f32 v24, -v25, v28, v26
	v_cvt_i32_f32_e32 v25, v32
	v_cndmask_b32_e32 v15, 0x7f800000, v18, vcc_lo
	v_exp_f32_e32 v18, v19
	s_waitcnt vmcnt(10)
	v_mul_f32_e32 v19, 0xbfb8aa3b, v13
	v_cmp_nlt_f32_e32 vcc_lo, 0x42ce8ed0, v14
	v_rcp_f32_e32 v31, v27
	v_add_f32_e32 v15, 1.0, v15
	v_rndne_f32_e32 v26, v19
	v_fma_f32 v29, 0xbfb8aa3b, v13, -v19
	v_div_scale_f32 v32, null, v15, v15, 1.0
	v_ldexp_f32 v18, v18, v25
	v_sub_f32_e32 v19, v19, v26
	v_fmac_f32_e32 v29, 0xb2a5705f, v13
	v_fma_f32 v20, -v27, v31, 1.0
	v_cvt_i32_f32_e32 v26, v26
	v_cndmask_b32_e32 v18, 0, v18, vcc_lo
	s_mov_b32 vcc_lo, s0
	v_add_f32_e32 v19, v19, v29
	v_div_fmas_f32 v24, v24, v30, v28
	v_cmp_ngt_f32_e32 vcc_lo, 0xc2b17218, v14
	v_fmac_f32_e32 v31, v20, v31
	v_div_scale_f32 v20, s1, 1.0, v16, 1.0
	v_rcp_f32_e32 v33, v32
	v_cndmask_b32_e32 v14, 0x7f800000, v18, vcc_lo
	v_exp_f32_e32 v18, v19
	s_waitcnt vmcnt(9)
	v_mul_f32_e32 v19, 0xbfb8aa3b, v12
	v_mul_f32_e32 v25, v20, v31
	v_cmp_nlt_f32_e32 vcc_lo, 0x42ce8ed0, v13
	v_add_f32_e32 v14, 1.0, v14
	v_div_fixup_f32 v24, v24, v17, 1.0
	v_rndne_f32_e32 v29, v19
	v_fma_f32 v30, 0xbfb8aa3b, v12, -v19
	v_fma_f32 v28, -v27, v25, v20
	v_div_scale_f32 v34, null, v14, v14, 1.0
	v_ldexp_f32 v18, v18, v26
	v_sub_f32_e32 v19, v19, v29
	v_fmac_f32_e32 v30, 0xb2a5705f, v12
	v_fmac_f32_e32 v25, v28, v31
	v_fma_f32 v28, -v32, v33, 1.0
	v_cndmask_b32_e32 v18, 0, v18, vcc_lo
	v_cmp_ngt_f32_e32 vcc_lo, 0xc2b17218, v13
	v_add_f32_e32 v19, v19, v30
	v_rcp_f32_e32 v26, v34
	v_fmac_f32_e32 v33, v28, v33
	v_div_scale_f32 v28, s0, 1.0, v15, 1.0
	v_cndmask_b32_e32 v13, 0x7f800000, v18, vcc_lo
	v_exp_f32_e32 v17, v19
	v_fma_f32 v19, -v27, v25, v20
	v_cvt_i32_f32_e32 v27, v29
	v_mul_f32_e32 v18, v28, v33
	v_add_f32_e32 v13, 1.0, v13
	v_cmp_nlt_f32_e32 vcc_lo, 0x42ce8ed0, v12
	v_fma_f32 v20, -v34, v26, 1.0
	v_fma_f32 v29, -v32, v18, v28
	v_div_scale_f32 v30, null, v13, v13, 1.0
	v_ldexp_f32 v17, v17, v27
	v_fmac_f32_e32 v26, v20, v26
	v_div_scale_f32 v20, s2, 1.0, v14, 1.0
	v_rcp_f32_e32 v35, v30
	v_cndmask_b32_e32 v17, 0, v17, vcc_lo
	s_mov_b32 vcc_lo, s1
	v_fmac_f32_e32 v18, v29, v33
	v_div_fmas_f32 v19, v19, v31, v25
	v_cmp_ngt_f32_e32 vcc_lo, 0xc2b17218, v12
	v_mul_f32_e32 v27, v20, v26
	v_div_scale_f32 v31, s1, 1.0, v13, 1.0
	v_div_fixup_f32 v25, v19, v16, 1.0
	v_cndmask_b32_e32 v12, 0x7f800000, v17, vcc_lo
	v_fma_f32 v17, -v30, v35, 1.0
	v_fma_f32 v19, -v32, v18, v28
	s_waitcnt vmcnt(8)
	v_mul_f32_e32 v28, 0xbfb8aa3b, v11
	v_fma_f32 v16, -v34, v27, v20
	v_add_f32_e32 v12, 1.0, v12
	v_fmac_f32_e32 v35, v17, v35
	s_mov_b32 vcc_lo, s0
	v_rndne_f32_e32 v17, v28
	v_fma_f32 v29, 0xbfb8aa3b, v11, -v28
	v_fmac_f32_e32 v27, v16, v26
	v_div_fmas_f32 v18, v19, v33, v18
	v_div_scale_f32 v16, null, v12, v12, 1.0
	v_sub_f32_e32 v28, v28, v17
	v_fmac_f32_e32 v29, 0xb2a5705f, v11
	v_fma_f32 v19, -v34, v27, v20
	v_mul_f32_e32 v20, v31, v35
	s_mov_b32 vcc_lo, s2
	v_rcp_f32_e32 v32, v16
	v_add_f32_e32 v28, v28, v29
	v_div_fmas_f32 v19, v19, v26, v27
	v_fma_f32 v29, -v30, v20, v31
	v_div_fixup_f32 v27, v18, v15, 1.0
	s_waitcnt vmcnt(7)
	v_mul_f32_e32 v15, 0xbfb8aa3b, v10
	v_exp_f32_e32 v28, v28
	v_div_fixup_f32 v26, v19, v14, 1.0
	v_cvt_i32_f32_e32 v14, v17
	v_fmac_f32_e32 v20, v29, v35
	v_cmp_nlt_f32_e32 vcc_lo, 0x42ce8ed0, v11
	v_fma_f32 v33, -v16, v32, 1.0
	v_rndne_f32_e32 v19, v15
	v_div_scale_f32 v17, s0, 1.0, v12, 1.0
	v_fma_f32 v18, -v30, v20, v31
	v_ldexp_f32 v14, v28, v14
	v_fma_f32 v28, 0xbfb8aa3b, v10, -v15
	v_fmac_f32_e32 v32, v33, v32
	v_sub_f32_e32 v15, v15, v19
	v_cvt_i32_f32_e32 v19, v19
	v_cndmask_b32_e32 v14, 0, v14, vcc_lo
	s_mov_b32 vcc_lo, s1
	v_fmac_f32_e32 v28, 0xb2a5705f, v10
	v_div_fmas_f32 v18, v18, v35, v20
	v_cmp_ngt_f32_e32 vcc_lo, 0xc2b17218, v11
	v_mul_f32_e32 v29, v17, v32
	v_cndmask_b32_e32 v11, 0x7f800000, v14, vcc_lo
	v_add_f32_e32 v14, v15, v28
	s_waitcnt vmcnt(6)
	v_mul_f32_e32 v15, 0xbfb8aa3b, v9
	v_fma_f32 v20, -v16, v29, v17
	v_div_fixup_f32 v28, v18, v13, 1.0
	v_cmp_nlt_f32_e32 vcc_lo, 0x42ce8ed0, v10
	v_exp_f32_e32 v13, v14
	v_rndne_f32_e32 v14, v15
	v_fma_f32 v18, 0xbfb8aa3b, v9, -v15
	v_fmac_f32_e32 v29, v20, v32
	s_waitcnt vmcnt(5)
	v_mul_f32_e32 v20, 0xbfb8aa3b, v8
	v_add_f32_e32 v11, 1.0, v11
	v_sub_f32_e32 v15, v15, v14
	v_fmac_f32_e32 v18, 0xb2a5705f, v9
	v_fma_f32 v16, -v16, v29, v17
	v_rndne_f32_e32 v31, v20
	v_fma_f32 v33, 0xbfb8aa3b, v8, -v20
	v_ldexp_f32 v13, v13, v19
	v_add_f32_e32 v15, v15, v18
	v_div_scale_f32 v30, null, v11, v11, 1.0
	v_sub_f32_e32 v18, v20, v31
	v_fmac_f32_e32 v33, 0xb2a5705f, v8
	v_cndmask_b32_e32 v13, 0, v13, vcc_lo
	v_exp_f32_e32 v15, v15
	v_cmp_ngt_f32_e32 vcc_lo, 0xc2b17218, v10
	v_rcp_f32_e32 v34, v30
	v_add_f32_e32 v17, v18, v33
	v_cndmask_b32_e32 v10, 0x7f800000, v13, vcc_lo
	v_cvt_i32_f32_e32 v13, v14
	s_mov_b32 vcc_lo, s0
	v_exp_f32_e32 v14, v17
	v_div_fmas_f32 v16, v16, v32, v29
	v_cmp_nlt_f32_e32 vcc_lo, 0x42ce8ed0, v9
	v_ldexp_f32 v13, v15, v13
	v_cvt_i32_f32_e32 v15, v31
	v_add_f32_e32 v10, 1.0, v10
	v_fma_f32 v18, -v30, v34, 1.0
	v_cmp_ngt_f32_e64 s0, 0xc2b17218, v8
	v_cndmask_b32_e32 v13, 0, v13, vcc_lo
	v_cmp_ngt_f32_e32 vcc_lo, 0xc2b17218, v9
	v_ldexp_f32 v14, v14, v15
	v_div_scale_f32 v15, null, v10, v10, 1.0
	v_fmac_f32_e32 v34, v18, v34
	v_cndmask_b32_e32 v9, 0x7f800000, v13, vcc_lo
	v_cmp_nlt_f32_e32 vcc_lo, 0x42ce8ed0, v8
	v_rcp_f32_e32 v17, v15
	s_waitcnt vmcnt(4)
	v_mul_f32_e32 v31, 0xbfb8aa3b, v7
	v_div_fixup_f32 v29, v16, v12, 1.0
	v_add_f32_e32 v9, 1.0, v9
	v_cndmask_b32_e32 v13, 0, v14, vcc_lo
	v_div_scale_f32 v14, vcc_lo, 1.0, v11, 1.0
	v_rndne_f32_e32 v33, v31
	v_fma_f32 v35, 0xbfb8aa3b, v7, -v31
	v_cndmask_b32_e64 v8, 0x7f800000, v13, s0
	v_mul_f32_e32 v13, v14, v34
	v_fma_f32 v16, -v15, v17, 1.0
	v_div_scale_f32 v18, null, v9, v9, 1.0
	v_add_f32_e32 v8, 1.0, v8
	v_fma_f32 v12, -v30, v13, v14
	v_sub_f32_e32 v31, v31, v33
	v_fmac_f32_e32 v35, 0xb2a5705f, v7
	v_fmac_f32_e32 v17, v16, v17
	v_div_scale_f32 v20, null, v8, v8, 1.0
	v_div_scale_f32 v16, s0, 1.0, v10, 1.0
	v_rcp_f32_e32 v19, v18
	v_fmac_f32_e32 v13, v12, v34
	v_add_f32_e32 v31, v31, v35
	v_rcp_f32_e32 v32, v20
	v_mul_f32_e32 v12, v16, v17
	v_fma_f32 v14, -v30, v13, v14
	v_exp_f32_e32 v31, v31
	v_fma_f32 v30, -v15, v12, v16
	v_fma_f32 v36, -v18, v19, 1.0
	v_div_fmas_f32 v13, v14, v34, v13
	v_cvt_i32_f32_e32 v14, v33
	v_fma_f32 v37, -v20, v32, 1.0
	v_fmac_f32_e32 v12, v30, v17
	v_fmac_f32_e32 v19, v36, v19
	v_div_scale_f32 v36, s1, 1.0, v9, 1.0
	v_div_fixup_f32 v30, v13, v11, 1.0
	v_ldexp_f32 v11, v31, v14
	v_cmp_nlt_f32_e32 vcc_lo, 0x42ce8ed0, v7
	v_fmac_f32_e32 v32, v37, v32
	v_div_scale_f32 v37, s2, 1.0, v8, 1.0
	v_fma_f32 v13, -v15, v12, v16
	v_mul_f32_e32 v35, v36, v19
	v_cndmask_b32_e32 v11, 0, v11, vcc_lo
	s_mov_b32 vcc_lo, s0
	v_mul_f32_e32 v34, v37, v32
	v_div_fmas_f32 v12, v13, v17, v12
	v_cmp_ngt_f32_e32 vcc_lo, 0xc2b17218, v7
	v_fma_f32 v33, -v18, v35, v36
	v_fma_f32 v14, -v20, v34, v37
	v_cndmask_b32_e32 v7, 0x7f800000, v11, vcc_lo
	s_waitcnt vmcnt(3)
	v_mul_f32_e32 v11, 0xbfb8aa3b, v6
	v_fmac_f32_e32 v35, v33, v19
	v_fmac_f32_e32 v34, v14, v32
	s_mov_b32 vcc_lo, s1
	v_add_f32_e32 v7, 1.0, v7
	v_rndne_f32_e32 v14, v11
	v_fma_f32 v15, 0xbfb8aa3b, v6, -v11
	v_fma_f32 v13, -v18, v35, v36
	v_fma_f32 v16, -v20, v34, v37
	v_div_fixup_f32 v33, v12, v10, 1.0
	v_sub_f32_e32 v11, v11, v14
	v_fmac_f32_e32 v15, 0xb2a5705f, v6
	v_div_fmas_f32 v13, v13, v19, v35
	s_mov_b32 vcc_lo, s2
	v_div_scale_f32 v17, null, v7, v7, 1.0
	v_div_fmas_f32 v16, v16, v32, v34
	v_add_f32_e32 v11, v11, v15
	s_waitcnt vmcnt(2)
	v_mul_f32_e32 v15, 0xbfb8aa3b, v5
	v_div_fixup_f32 v32, v13, v9, 1.0
	v_cvt_i32_f32_e32 v13, v14
	v_div_fixup_f32 v31, v16, v8, 1.0
	v_exp_f32_e32 v8, v11
	v_rndne_f32_e32 v9, v15
	v_fma_f32 v10, 0xbfb8aa3b, v5, -v15
	s_waitcnt vmcnt(1)
	v_mul_f32_e32 v11, 0xbfb8aa3b, v4
	v_rcp_f32_e32 v18, v17
	v_cmp_nlt_f32_e32 vcc_lo, 0x42ce8ed0, v6
	v_sub_f32_e32 v14, v15, v9
	v_fmac_f32_e32 v10, 0xb2a5705f, v5
	v_rndne_f32_e32 v15, v11
	v_fma_f32 v16, 0xbfb8aa3b, v4, -v11
	v_ldexp_f32 v8, v8, v13
	s_waitcnt vmcnt(0)
	v_mul_f32_e32 v19, 0xbfb8aa3b, v3
	v_add_f32_e32 v10, v14, v10
	v_sub_f32_e32 v11, v11, v15
	v_fmac_f32_e32 v16, 0xb2a5705f, v4
	v_cndmask_b32_e32 v8, 0, v8, vcc_lo
	v_cmp_ngt_f32_e32 vcc_lo, 0xc2b17218, v6
	v_exp_f32_e32 v10, v10
	v_fma_f32 v12, -v17, v18, 1.0
	v_add_f32_e32 v11, v11, v16
	v_rndne_f32_e32 v13, v19
	v_fma_f32 v14, 0xbfb8aa3b, v3, -v19
	v_cndmask_b32_e32 v6, 0x7f800000, v8, vcc_lo
	v_cvt_i32_f32_e32 v9, v9
	v_exp_f32_e32 v8, v11
	v_sub_f32_e32 v16, v19, v13
	v_fmac_f32_e32 v14, 0xb2a5705f, v3
	v_fmac_f32_e32 v18, v12, v18
	v_cvt_i32_f32_e32 v12, v15
	v_ldexp_f32 v9, v10, v9
	v_cmp_nlt_f32_e32 vcc_lo, 0x42ce8ed0, v5
	v_add_f32_e32 v11, v16, v14
	v_add_f32_e32 v6, 1.0, v6
	v_ldexp_f32 v8, v8, v12
	v_cndmask_b32_e32 v9, 0, v9, vcc_lo
	v_cmp_nlt_f32_e32 vcc_lo, 0x42ce8ed0, v4
	v_exp_f32_e32 v10, v11
	v_cvt_i32_f32_e32 v12, v13
	v_div_scale_f32 v11, null, v6, v6, 1.0
	v_cndmask_b32_e32 v8, 0, v8, vcc_lo
	v_cmp_ngt_f32_e32 vcc_lo, 0xc2b17218, v5
	v_cndmask_b32_e32 v5, 0x7f800000, v9, vcc_lo
	v_cmp_ngt_f32_e32 vcc_lo, 0xc2b17218, v4
	v_ldexp_f32 v9, v10, v12
	v_add_f32_e32 v5, 1.0, v5
	v_cndmask_b32_e32 v4, 0x7f800000, v8, vcc_lo
	v_cmp_nlt_f32_e32 vcc_lo, 0x42ce8ed0, v3
	v_rcp_f32_e32 v8, v11
	v_div_scale_f32 v10, null, v5, v5, 1.0
	v_cndmask_b32_e32 v9, 0, v9, vcc_lo
	v_cmp_ngt_f32_e32 vcc_lo, 0xc2b17218, v3
	v_add_f32_e32 v4, 1.0, v4
	v_rcp_f32_e32 v13, v10
	v_cndmask_b32_e32 v3, 0x7f800000, v9, vcc_lo
	v_div_scale_f32 v9, null, v4, v4, 1.0
	v_div_scale_f32 v12, vcc_lo, 1.0, v7, 1.0
	v_add_f32_e32 v3, 1.0, v3
	v_rcp_f32_e32 v15, v9
	v_fma_f32 v14, -v11, v8, 1.0
	v_mul_f32_e32 v16, v12, v18
	v_fma_f32 v20, -v10, v13, 1.0
	v_div_scale_f32 v19, null, v3, v3, 1.0
	v_fmac_f32_e32 v8, v14, v8
	v_div_scale_f32 v14, s0, 1.0, v6, 1.0
	v_rcp_f32_e32 v34, v19
	v_fma_f32 v36, -v9, v15, 1.0
	v_fma_f32 v35, -v17, v16, v12
	v_mul_f32_e32 v37, v14, v8
	v_fmac_f32_e32 v13, v20, v13
	v_div_scale_f32 v20, s1, 1.0, v5, 1.0
	v_fmac_f32_e32 v15, v36, v15
	v_div_scale_f32 v36, s2, 1.0, v4, 1.0
	v_fma_f32 v38, -v19, v34, 1.0
	v_fmac_f32_e32 v16, v35, v18
	v_fma_f32 v35, -v11, v37, v14
	v_mul_f32_e32 v39, v20, v13
	v_mul_f32_e32 v40, v36, v15
	v_fmac_f32_e32 v34, v38, v34
	v_div_scale_f32 v38, s3, 1.0, v3, 1.0
	v_fmac_f32_e32 v37, v35, v8
	v_fma_f32 v12, -v17, v16, v12
	v_fma_f32 v17, -v10, v39, v20
	v_mul_f32_e32 v41, v38, v34
	v_fma_f32 v35, -v9, v40, v36
	v_fma_f32 v11, -v11, v37, v14
	v_div_fmas_f32 v12, v12, v18, v16
	v_fmac_f32_e32 v39, v17, v13
	v_fma_f32 v14, -v19, v41, v38
	v_fmac_f32_e32 v40, v35, v15
	s_mov_b32 vcc_lo, s0
	v_fma_f32 v10, -v10, v39, v20
	v_fmac_f32_e32 v41, v14, v34
	v_fma_f32 v9, -v9, v40, v36
	v_div_fmas_f32 v8, v11, v8, v37
	s_mov_b32 vcc_lo, s1
	v_fma_f32 v11, -v19, v41, v38
	v_div_fmas_f32 v10, v10, v13, v39
	s_mov_b32 vcc_lo, s2
	v_div_fixup_f32 v38, v12, v7, 1.0
	v_div_fmas_f32 v9, v9, v15, v40
	s_mov_b32 vcc_lo, s3
	v_div_fixup_f32 v37, v8, v6, 1.0
	v_div_fmas_f32 v11, v11, v34, v41
	v_div_fixup_f32 v36, v10, v5, 1.0
	v_div_fixup_f32 v35, v9, v4, 1.0
	;; [unrolled: 1-line block ×3, first 2 shown]
.LBB10_6:
	s_waitcnt vmcnt(17)
	v_mov_b32_e32 v20, v21
	s_waitcnt vmcnt(16)
	v_mov_b32_e32 v19, v22
	;; [unrolled: 2-line block ×18, first 2 shown]
.LBB10_7:
	v_or_b32_e32 v69, 0x200, v0
	v_add_nc_u32_e32 v68, 0x220, v0
	s_lshr_b32 s0, s4, 8
	s_cmp_gt_i32 s25, 0
	s_cbranch_scc1 .LBB10_9
; %bb.8:
	s_bitcmp1_b32 s0, 0
	s_mov_b32 s1, 0
	s_cselect_b32 s10, -1, 0
	s_branch .LBB10_10
.LBB10_9:
	s_mov_b32 s1, -1
                                        ; implicit-def: $sgpr10
.LBB10_10:
	v_add_nc_u32_e32 v84, 32, v0
	v_add_nc_u32_e32 v83, 64, v0
	v_add_nc_u32_e32 v82, 0x60, v0
	v_or_b32_e32 v81, 0x80, v0
	v_add_nc_u32_e32 v80, 0xa0, v0
	v_add_nc_u32_e32 v79, 0xc0, v0
	v_add_nc_u32_e32 v78, 0xe0, v0
	v_or_b32_e32 v77, 0x100, v0
	;; [unrolled: 4-line block ×3, first 2 shown]
	v_add_nc_u32_e32 v72, 0x1a0, v0
	v_add_nc_u32_e32 v71, 0x1c0, v0
	;; [unrolled: 1-line block ×3, first 2 shown]
	v_mbcnt_lo_u32_b32 v85, -1, 0
	s_andn2_b32 vcc_lo, exec_lo, s1
	s_mov_b32 s9, 0
	s_cbranch_vccnz .LBB10_37
; %bb.11:
	v_add_co_u32 v21, s1, s22, v67
	v_add_co_ci_u32_e64 v22, null, s23, 0, s1
	v_mov_b32_e32 v33, 0
	v_add_co_u32 v21, vcc_lo, 0x800, v21
	v_add_co_ci_u32_e64 v22, null, 0, v22, vcc_lo
	s_clause 0x11
	global_load_dword v34, v67, s[22:23]
	global_load_dword v35, v67, s[22:23] offset:128
	global_load_dword v36, v67, s[22:23] offset:256
	;; [unrolled: 1-line block ×15, first 2 shown]
	global_load_dword v50, v[21:22], off
	global_load_dword v51, v[21:22], off offset:128
	s_waitcnt vmcnt(35)
	v_cmp_o_f32_e32 vcc_lo, v20, v20
	s_bitcmp1_b32 s0, 0
	s_cselect_b32 s10, -1, 0
	v_cndmask_b32_e32 v21, 0xff7fffff, v20, vcc_lo
	s_waitcnt vmcnt(34)
	v_cmp_o_f32_e32 vcc_lo, v19, v19
	v_cndmask_b32_e32 v22, 0xff7fffff, v19, vcc_lo
	s_waitcnt vmcnt(33)
	v_cmp_o_f32_e32 vcc_lo, v18, v18
	;; [unrolled: 3-line block ×4, first 2 shown]
	v_mov_b32_e32 v17, v33
	v_cndmask_b32_e32 v25, 0xff7fffff, v16, vcc_lo
	s_waitcnt vmcnt(30)
	v_cmp_o_f32_e32 vcc_lo, v15, v15
	v_mov_b32_e32 v16, v33
	v_cndmask_b32_e32 v26, 0xff7fffff, v15, vcc_lo
	s_waitcnt vmcnt(29)
	v_cmp_o_f32_e32 vcc_lo, v14, v14
	;; [unrolled: 4-line block ×11, first 2 shown]
	v_xor_b32_e32 v6, 1, v85
	v_cndmask_b32_e32 v89, 0xff7fffff, v5, vcc_lo
	s_waitcnt vmcnt(19)
	v_cmp_o_f32_e32 vcc_lo, v4, v4
	v_xor_b32_e32 v5, 2, v85
	v_cndmask_b32_e32 v90, 0xff7fffff, v4, vcc_lo
	s_waitcnt vmcnt(18)
	v_cmp_o_f32_e32 vcc_lo, v3, v3
	v_xor_b32_e32 v4, 4, v85
	v_cndmask_b32_e32 v91, 0xff7fffff, v3, vcc_lo
	v_add_co_u32 v19, vcc_lo, s20, v1
	v_add_co_ci_u32_e64 v20, null, s21, v2, vcc_lo
	v_xor_b32_e32 v2, 16, v85
	v_xor_b32_e32 v3, 8, v85
	v_mov_b32_e32 v1, 0
	v_cmp_gt_i32_e32 vcc_lo, 32, v2
	v_cndmask_b32_e32 v18, v85, v2, vcc_lo
	v_cmp_gt_i32_e32 vcc_lo, 32, v3
	v_mov_b32_e32 v2, v33
	v_lshlrev_b32_e32 v92, 2, v18
	v_cndmask_b32_e32 v52, v85, v3, vcc_lo
	v_cmp_gt_i32_e32 vcc_lo, 32, v4
	v_mov_b32_e32 v3, v33
	v_mov_b32_e32 v18, v33
	v_lshlrev_b32_e32 v93, 2, v52
	v_cndmask_b32_e32 v53, v85, v4, vcc_lo
	v_cmp_gt_i32_e32 vcc_lo, 32, v5
	v_mov_b32_e32 v4, v33
	v_lshlrev_b32_e32 v94, 2, v53
	v_cndmask_b32_e32 v54, v85, v5, vcc_lo
	v_cmp_gt_i32_e32 vcc_lo, 32, v6
	v_mov_b32_e32 v5, v33
	v_lshlrev_b32_e32 v95, 2, v54
	v_cndmask_b32_e32 v55, v85, v6, vcc_lo
	v_mov_b32_e32 v6, v33
	v_lshlrev_b32_e32 v96, 2, v55
	s_waitcnt vmcnt(17)
	v_add_f32_e32 v97, v21, v34
	s_waitcnt vmcnt(16)
	v_add_f32_e32 v98, v22, v35
	;; [unrolled: 2-line block ×18, first 2 shown]
	s_branch .LBB10_13
.LBB10_12:                              ;   in Loop: Header=BB10_13 Depth=1
	s_or_b32 exec_lo, exec_lo, s0
	s_and_b32 s0, s9, 31
	s_waitcnt lgkmcnt(0)
	v_mov_b32_e32 v65, v32
	v_mov_b32_e32 v34, v1
	v_cmp_eq_u32_e32 vcc_lo, s0, v0
	s_lshr_b32 m0, s9, 5
	v_mov_b32_e32 v64, v31
	v_mov_b32_e32 v63, v30
	;; [unrolled: 1-line block ×30, first 2 shown]
	v_movreld_b32_e32 v34, v115
	v_cndmask_b32_e32 v18, v18, v51, vcc_lo
	v_cndmask_b32_e32 v17, v17, v50, vcc_lo
	;; [unrolled: 1-line block ×18, first 2 shown]
	v_add_co_u32 v19, vcc_lo, v19, 4
	v_add_co_ci_u32_e64 v20, null, 0, v20, vcc_lo
	s_add_i32 s9, s9, 1
	s_cmp_eq_u32 s25, s9
	s_cbranch_scc1 .LBB10_38
.LBB10_13:                              ; =>This Inner Loop Header: Depth=1
	v_cmp_gt_f32_e32 vcc_lo, v98, v97
	v_cndmask_b32_e32 v35, v97, v98, vcc_lo
	v_cndmask_b32_e32 v34, v21, v22, vcc_lo
	;; [unrolled: 1-line block ×3, first 2 shown]
	v_cmp_gt_f32_e64 s0, v99, v35
	v_cndmask_b32_e64 v35, v35, v99, s0
	v_cndmask_b32_e64 v34, v34, v23, s0
	v_cndmask_b32_e64 v36, v36, v83, s0
	v_cmp_gt_f32_e64 s1, v100, v35
	v_cndmask_b32_e64 v35, v35, v100, s1
	v_cndmask_b32_e64 v34, v34, v24, s1
	v_cndmask_b32_e64 v36, v36, v82, s1
	;; [unrolled: 4-line block ×9, first 2 shown]
	v_cmp_gt_f32_e32 vcc_lo, v108, v35
	v_cndmask_b32_e32 v35, v35, v108, vcc_lo
	v_cndmask_b32_e32 v34, v34, v32, vcc_lo
	;; [unrolled: 1-line block ×3, first 2 shown]
	v_cmp_gt_f32_e64 s0, v109, v35
	v_cndmask_b32_e64 v35, v35, v109, s0
	v_cndmask_b32_e64 v34, v34, v86, s0
	v_cndmask_b32_e64 v36, v36, v73, s0
	v_cmp_gt_f32_e64 s1, v110, v35
	v_cndmask_b32_e64 v35, v35, v110, s1
	v_cndmask_b32_e64 v34, v34, v87, s1
	v_cndmask_b32_e64 v36, v36, v72, s1
	;; [unrolled: 4-line block ×3, first 2 shown]
	s_mov_b32 s2, exec_lo
	v_cmp_gt_f32_e64 s3, v112, v35
	v_cndmask_b32_e64 v35, v35, v112, s3
	v_cndmask_b32_e64 v34, v34, v89, s3
	;; [unrolled: 1-line block ×3, first 2 shown]
	v_cmp_gt_f32_e32 vcc_lo, v113, v35
	v_cndmask_b32_e32 v35, v35, v113, vcc_lo
	v_cndmask_b32_e32 v34, v34, v90, vcc_lo
	v_cmp_gt_f32_e64 s0, v114, v35
	v_cndmask_b32_e64 v115, v34, v91, s0
	v_cndmask_b32_e64 v35, v35, v114, s0
	v_cndmask_b32_e32 v34, v36, v69, vcc_lo
	ds_bpermute_b32 v38, v92, v115
	ds_bpermute_b32 v36, v92, v35
	v_cndmask_b32_e64 v34, v34, v68, s0
	ds_bpermute_b32 v37, v92, v34
	s_waitcnt lgkmcnt(1)
	v_cmp_lt_f32_e64 s1, v35, v36
	v_cmpx_nlt_f32_e32 v35, v36
	s_cbranch_execz .LBB10_15
; %bb.14:                               ;   in Loop: Header=BB10_13 Depth=1
	v_cmp_eq_f32_e32 vcc_lo, v35, v36
	s_waitcnt lgkmcnt(0)
	v_cmp_lt_i32_e64 s0, v37, v34
	s_andn2_b32 s1, s1, exec_lo
	s_and_b32 s0, vcc_lo, s0
	s_and_b32 s0, s0, exec_lo
	s_or_b32 s1, s1, s0
.LBB10_15:                              ;   in Loop: Header=BB10_13 Depth=1
	s_or_b32 exec_lo, exec_lo, s2
	s_and_saveexec_b32 s0, s1
	s_cbranch_execz .LBB10_17
; %bb.16:                               ;   in Loop: Header=BB10_13 Depth=1
	v_mov_b32_e32 v35, v36
	v_mov_b32_e32 v115, v38
	s_waitcnt lgkmcnt(0)
	v_mov_b32_e32 v34, v37
.LBB10_17:                              ;   in Loop: Header=BB10_13 Depth=1
	s_or_b32 exec_lo, exec_lo, s0
	ds_bpermute_b32 v38, v93, v35
	s_waitcnt lgkmcnt(1)
	ds_bpermute_b32 v37, v93, v115
	ds_bpermute_b32 v36, v93, v34
	s_mov_b32 s2, exec_lo
	s_waitcnt lgkmcnt(2)
	v_cmp_lt_f32_e64 s1, v35, v38
	v_cmpx_nlt_f32_e32 v35, v38
	s_cbranch_execz .LBB10_19
; %bb.18:                               ;   in Loop: Header=BB10_13 Depth=1
	v_cmp_eq_f32_e32 vcc_lo, v35, v38
	s_waitcnt lgkmcnt(0)
	v_cmp_lt_i32_e64 s0, v36, v34
	s_andn2_b32 s1, s1, exec_lo
	s_and_b32 s0, vcc_lo, s0
	s_and_b32 s0, s0, exec_lo
	s_or_b32 s1, s1, s0
.LBB10_19:                              ;   in Loop: Header=BB10_13 Depth=1
	s_or_b32 exec_lo, exec_lo, s2
	s_and_saveexec_b32 s0, s1
	s_cbranch_execz .LBB10_21
; %bb.20:                               ;   in Loop: Header=BB10_13 Depth=1
	v_mov_b32_e32 v35, v38
	s_waitcnt lgkmcnt(1)
	v_mov_b32_e32 v115, v37
	s_waitcnt lgkmcnt(0)
	v_mov_b32_e32 v34, v36
.LBB10_21:                              ;   in Loop: Header=BB10_13 Depth=1
	s_or_b32 exec_lo, exec_lo, s0
	ds_bpermute_b32 v38, v94, v35
	s_waitcnt lgkmcnt(2)
	ds_bpermute_b32 v37, v94, v115
	s_waitcnt lgkmcnt(2)
	ds_bpermute_b32 v36, v94, v34
	s_mov_b32 s2, exec_lo
	s_waitcnt lgkmcnt(2)
	v_cmp_lt_f32_e64 s1, v35, v38
	v_cmpx_nlt_f32_e32 v35, v38
	s_cbranch_execz .LBB10_23
; %bb.22:                               ;   in Loop: Header=BB10_13 Depth=1
	v_cmp_eq_f32_e32 vcc_lo, v35, v38
	s_waitcnt lgkmcnt(0)
	v_cmp_lt_i32_e64 s0, v36, v34
	s_andn2_b32 s1, s1, exec_lo
	s_and_b32 s0, vcc_lo, s0
	s_and_b32 s0, s0, exec_lo
	s_or_b32 s1, s1, s0
.LBB10_23:                              ;   in Loop: Header=BB10_13 Depth=1
	s_or_b32 exec_lo, exec_lo, s2
	s_and_saveexec_b32 s0, s1
	s_cbranch_execz .LBB10_25
; %bb.24:                               ;   in Loop: Header=BB10_13 Depth=1
	v_mov_b32_e32 v35, v38
	s_waitcnt lgkmcnt(1)
	v_mov_b32_e32 v115, v37
	s_waitcnt lgkmcnt(0)
	v_mov_b32_e32 v34, v36
.LBB10_25:                              ;   in Loop: Header=BB10_13 Depth=1
	s_or_b32 exec_lo, exec_lo, s0
	ds_bpermute_b32 v38, v95, v35
	s_waitcnt lgkmcnt(2)
	ds_bpermute_b32 v37, v95, v115
	s_waitcnt lgkmcnt(2)
	;; [unrolled: 30-line block ×3, first 2 shown]
	ds_bpermute_b32 v36, v96, v34
	s_mov_b32 s2, exec_lo
	s_waitcnt lgkmcnt(2)
	v_cmp_lt_f32_e64 s1, v35, v38
	v_cmpx_nlt_f32_e32 v35, v38
	s_cbranch_execz .LBB10_31
; %bb.30:                               ;   in Loop: Header=BB10_13 Depth=1
	v_cmp_eq_f32_e32 vcc_lo, v35, v38
	s_waitcnt lgkmcnt(0)
	v_cmp_lt_i32_e64 s0, v36, v34
	s_andn2_b32 s1, s1, exec_lo
	s_and_b32 s0, vcc_lo, s0
	s_and_b32 s0, s0, exec_lo
	s_or_b32 s1, s1, s0
.LBB10_31:                              ;   in Loop: Header=BB10_13 Depth=1
	s_or_b32 exec_lo, exec_lo, s2
	s_and_saveexec_b32 s0, s1
	s_cbranch_execz .LBB10_33
; %bb.32:                               ;   in Loop: Header=BB10_13 Depth=1
	s_waitcnt lgkmcnt(1)
	v_mov_b32_e32 v115, v37
	s_waitcnt lgkmcnt(0)
	v_mov_b32_e32 v34, v36
.LBB10_33:                              ;   in Loop: Header=BB10_13 Depth=1
	s_or_b32 exec_lo, exec_lo, s0
	v_and_b32_e32 v35, 31, v34
	v_cmp_eq_u32_e32 vcc_lo, v35, v0
	s_and_saveexec_b32 s1, vcc_lo
	s_cbranch_execz .LBB10_35
; %bb.34:                               ;   in Loop: Header=BB10_13 Depth=1
	v_ashrrev_i32_e32 v35, 31, v34
	v_lshrrev_b32_e32 v35, 27, v35
	v_add_nc_u32_e32 v35, v34, v35
	v_ashrrev_i32_e32 v35, 5, v35
	v_cmp_ne_u32_e64 s0, 17, v35
	v_cndmask_b32_e64 v114, 0xff800000, v114, s0
	v_cmp_ne_u32_e64 s0, 16, v35
	v_cndmask_b32_e64 v113, 0xff800000, v113, s0
	;; [unrolled: 2-line block ×18, first 2 shown]
.LBB10_35:                              ;   in Loop: Header=BB10_13 Depth=1
	s_or_b32 exec_lo, exec_lo, s1
	s_and_saveexec_b32 s0, vcc_lo
	s_cbranch_execz .LBB10_12
; %bb.36:                               ;   in Loop: Header=BB10_13 Depth=1
	v_add_f32_e32 v35, v33, v115
	global_store_dword v[19:20], v34, off
	v_cndmask_b32_e64 v33, v33, v35, s10
	s_branch .LBB10_12
.LBB10_37:
	v_mov_b32_e32 v33, 0
	v_mov_b32_e32 v34, v33
	;; [unrolled: 1-line block ×18, first 2 shown]
	s_waitcnt vmcnt(0)
	v_mov_b32_e32 v1, v33
	v_mov_b32_e32 v2, v34
	v_mov_b32_e32 v3, v35
	v_mov_b32_e32 v4, v36
	v_mov_b32_e32 v5, v37
	v_mov_b32_e32 v6, v38
	v_mov_b32_e32 v7, v39
	v_mov_b32_e32 v8, v40
	v_mov_b32_e32 v9, v41
	v_mov_b32_e32 v10, v42
	v_mov_b32_e32 v11, v43
	v_mov_b32_e32 v12, v44
	v_mov_b32_e32 v13, v45
	v_mov_b32_e32 v14, v46
	v_mov_b32_e32 v15, v47
	v_mov_b32_e32 v16, v48
	v_mov_b32_e32 v17, v49
	v_mov_b32_e32 v18, v50
	v_mov_b32_e32 v19, v51
	v_mov_b32_e32 v20, v52
	v_mov_b32_e32 v21, v53
	v_mov_b32_e32 v22, v54
	v_mov_b32_e32 v23, v55
	v_mov_b32_e32 v24, v56
	v_mov_b32_e32 v25, v57
	v_mov_b32_e32 v26, v58
	v_mov_b32_e32 v27, v59
	v_mov_b32_e32 v28, v60
	v_mov_b32_e32 v29, v61
	v_mov_b32_e32 v30, v62
	v_mov_b32_e32 v31, v63
	v_mov_b32_e32 v32, v64
.LBB10_38:
	s_and_b32 vcc_lo, exec_lo, s10
	s_cbranch_vccz .LBB10_40
; %bb.39:
	v_xor_b32_e32 v19, 16, v85
	v_xor_b32_e32 v20, 8, v85
	v_xor_b32_e32 v21, 4, v85
	v_cmp_gt_i32_e32 vcc_lo, 32, v19
	v_cndmask_b32_e32 v19, v85, v19, vcc_lo
	v_cmp_gt_i32_e32 vcc_lo, 32, v20
	v_lshlrev_b32_e32 v19, 2, v19
	v_cndmask_b32_e32 v20, v85, v20, vcc_lo
	v_cmp_gt_i32_e32 vcc_lo, 32, v21
	ds_bpermute_b32 v19, v19, v33
	v_lshlrev_b32_e32 v20, 2, v20
	v_cndmask_b32_e32 v21, v85, v21, vcc_lo
	v_lshlrev_b32_e32 v21, 2, v21
	s_waitcnt lgkmcnt(0)
	v_add_f32_e32 v19, v33, v19
	ds_bpermute_b32 v20, v20, v19
	s_waitcnt lgkmcnt(0)
	v_add_f32_e32 v19, v19, v20
	ds_bpermute_b32 v20, v21, v19
	v_xor_b32_e32 v21, 2, v85
	v_cmp_gt_i32_e32 vcc_lo, 32, v21
	v_cndmask_b32_e32 v21, v85, v21, vcc_lo
	v_lshlrev_b32_e32 v21, 2, v21
	s_waitcnt lgkmcnt(0)
	v_add_f32_e32 v19, v19, v20
	ds_bpermute_b32 v20, v21, v19
	v_xor_b32_e32 v21, 1, v85
	v_cmp_gt_i32_e32 vcc_lo, 32, v21
	v_cndmask_b32_e32 v21, v85, v21, vcc_lo
	v_lshlrev_b32_e32 v21, 2, v21
	s_waitcnt lgkmcnt(0)
	v_add_f32_e32 v19, v19, v20
	ds_bpermute_b32 v20, v21, v19
	v_max_f32_e64 v21, s26, s26
	s_waitcnt lgkmcnt(0)
	v_add_f32_e32 v19, v19, v20
	v_max_f32_e32 v19, v19, v21
	v_div_scale_f32 v20, null, v19, v19, 1.0
	v_div_scale_f32 v23, vcc_lo, 1.0, v19, 1.0
	v_rcp_f32_e32 v21, v20
	v_fma_f32 v22, -v20, v21, 1.0
	v_fmac_f32_e32 v21, v22, v21
	v_mul_f32_e32 v22, v23, v21
	v_fma_f32 v24, -v20, v22, v23
	v_fmac_f32_e32 v22, v24, v21
	v_fma_f32 v20, -v20, v22, v23
	v_div_fmas_f32 v20, v20, v21, v22
	v_div_fixup_f32 v19, v20, v19, 1.0
	v_mul_f32_e32 v1, v19, v1
	v_mul_f32_e32 v2, v19, v2
	v_mul_f32_e32 v3, v19, v3
	v_mul_f32_e32 v4, v19, v4
	v_mul_f32_e32 v5, v19, v5
	v_mul_f32_e32 v6, v19, v6
	v_mul_f32_e32 v7, v19, v7
	v_mul_f32_e32 v8, v19, v8
	v_mul_f32_e32 v9, v19, v9
	v_mul_f32_e32 v10, v19, v10
	v_mul_f32_e32 v11, v19, v11
	v_mul_f32_e32 v12, v19, v12
	v_mul_f32_e32 v13, v19, v13
	v_mul_f32_e32 v14, v19, v14
	v_mul_f32_e32 v15, v19, v15
	v_mul_f32_e32 v16, v19, v16
	v_mul_f32_e32 v17, v19, v17
	v_mul_f32_e32 v18, v19, v18
.LBB10_40:
	v_cmp_gt_i32_e64 s0, s25, v84
	v_cmp_gt_i32_e64 s1, s25, v83
	;; [unrolled: 1-line block ×18, first 2 shown]
	s_andn2_b32 vcc_lo, exec_lo, s24
	s_cbranch_vccnz .LBB10_42
; %bb.41:
	v_max_f32_e32 v19, v1, v1
	v_max_f32_e32 v20, v2, v2
	;; [unrolled: 1-line block ×4, first 2 shown]
	v_cndmask_b32_e64 v19, 0xff800000, v19, s17
	v_max_f32_e32 v20, v19, v20
	v_cndmask_b32_e64 v19, v19, v20, s0
	v_max_f32_e32 v20, v19, v21
	v_max_f32_e32 v21, v4, v4
	v_cndmask_b32_e64 v19, v19, v20, s1
	v_max_f32_e32 v20, v19, v21
	;; [unrolled: 3-line block ×3, first 2 shown]
	v_cndmask_b32_e64 v19, v19, v20, s3
	v_max_f32_e32 v20, v6, v6
	v_max_f32_e32 v21, v19, v19
	v_max_f32_e32 v20, v21, v20
	v_cndmask_b32_e64 v19, v19, v20, s4
	v_max_f32_e32 v20, v7, v7
	v_max_f32_e32 v21, v19, v19
	v_max_f32_e32 v20, v21, v20
	;; [unrolled: 4-line block ×12, first 2 shown]
	v_max_f32_e32 v21, v18, v18
	v_cndmask_b32_e64 v20, v19, v20, s15
	v_xor_b32_e32 v19, 16, v85
	v_max_f32_e32 v22, v20, v20
	v_cmp_gt_i32_e32 vcc_lo, 32, v19
	v_max_f32_e32 v21, v22, v21
	v_cndmask_b32_e32 v19, v85, v19, vcc_lo
	v_xor_b32_e32 v22, 8, v85
	v_cndmask_b32_e64 v20, v20, v21, s16
	v_lshlrev_b32_e32 v19, 2, v19
	v_cmp_gt_i32_e32 vcc_lo, 32, v22
	v_max_f32_e32 v23, v20, v20
	ds_bpermute_b32 v21, v19, v20
	v_cndmask_b32_e32 v22, v85, v22, vcc_lo
	v_lshlrev_b32_e32 v20, 2, v22
	s_waitcnt lgkmcnt(0)
	v_max_f32_e32 v21, v21, v21
	v_max_f32_e32 v22, v23, v21
	v_xor_b32_e32 v23, 4, v85
	ds_bpermute_b32 v21, v20, v22
	v_cmp_gt_i32_e32 vcc_lo, 32, v23
	v_cndmask_b32_e32 v23, v85, v23, vcc_lo
	s_waitcnt lgkmcnt(0)
	v_max_f32_e32 v24, v21, v21
	v_lshlrev_b32_e32 v21, 2, v23
	v_max_f32_e32 v23, v22, v24
	v_xor_b32_e32 v24, 2, v85
	ds_bpermute_b32 v22, v21, v23
	v_cmp_gt_i32_e32 vcc_lo, 32, v24
	v_cndmask_b32_e32 v24, v85, v24, vcc_lo
	s_waitcnt lgkmcnt(0)
	v_max_f32_e32 v25, v22, v22
	v_lshlrev_b32_e32 v22, 2, v24
	v_max_f32_e32 v24, v23, v25
	v_xor_b32_e32 v25, 1, v85
	ds_bpermute_b32 v23, v22, v24
	v_cmp_gt_i32_e32 vcc_lo, 32, v25
	v_cndmask_b32_e32 v25, v85, v25, vcc_lo
	s_waitcnt lgkmcnt(0)
	v_max_f32_e32 v26, v23, v23
	v_lshlrev_b32_e32 v23, 2, v25
	v_max_f32_e32 v24, v24, v26
	ds_bpermute_b32 v25, v23, v24
	s_waitcnt lgkmcnt(0)
	v_max_f32_e32 v25, v25, v25
	v_max_f32_e32 v24, v24, v25
	v_sub_f32_e32 v1, v1, v24
	v_sub_f32_e32 v2, v2, v24
	;; [unrolled: 1-line block ×18, first 2 shown]
	v_mul_f32_e32 v24, 0x3fb8aa3b, v1
	v_mul_f32_e32 v25, 0x3fb8aa3b, v2
	;; [unrolled: 1-line block ×4, first 2 shown]
	v_cmp_ngt_f32_e32 vcc_lo, 0xc2ce8ed0, v1
	v_fma_f32 v42, 0x3fb8aa3b, v1, -v24
	v_rndne_f32_e32 v43, v24
	v_fma_f32 v44, 0x3fb8aa3b, v2, -v25
	v_rndne_f32_e32 v45, v25
	v_fma_f32 v46, 0x3fb8aa3b, v3, -v26
	v_fmac_f32_e32 v42, 0x32a5705f, v1
	v_sub_f32_e32 v24, v24, v43
	v_fmac_f32_e32 v44, 0x32a5705f, v2
	v_sub_f32_e32 v25, v25, v45
	v_rndne_f32_e32 v47, v26
	v_cvt_i32_f32_e32 v43, v43
	v_add_f32_e32 v24, v24, v42
	v_cvt_i32_f32_e32 v45, v45
	v_add_f32_e32 v25, v25, v44
	v_fmac_f32_e32 v46, 0x32a5705f, v3
	v_sub_f32_e32 v26, v26, v47
	v_exp_f32_e32 v24, v24
	v_fma_f32 v48, 0x3fb8aa3b, v4, -v27
	v_exp_f32_e32 v25, v25
	v_rndne_f32_e32 v49, v27
	v_add_f32_e32 v26, v26, v46
	v_mul_f32_e32 v28, 0x3fb8aa3b, v5
	v_fmac_f32_e32 v48, 0x32a5705f, v4
	v_cvt_i32_f32_e32 v47, v47
	v_sub_f32_e32 v27, v27, v49
	v_exp_f32_e32 v26, v26
	v_ldexp_f32 v24, v24, v43
	v_fma_f32 v50, 0x3fb8aa3b, v5, -v28
	v_ldexp_f32 v25, v25, v45
	v_rndne_f32_e32 v51, v28
	v_add_f32_e32 v27, v27, v48
	v_cndmask_b32_e32 v24, 0, v24, vcc_lo
	v_cmp_ngt_f32_e32 vcc_lo, 0xc2ce8ed0, v2
	v_mul_f32_e32 v29, 0x3fb8aa3b, v6
	v_fmac_f32_e32 v50, 0x32a5705f, v5
	v_sub_f32_e32 v28, v28, v51
	v_ldexp_f32 v26, v26, v47
	v_cndmask_b32_e32 v25, 0, v25, vcc_lo
	v_cmp_nlt_f32_e32 vcc_lo, 0x42b17218, v1
	v_fma_f32 v52, 0x3fb8aa3b, v6, -v29
	v_rndne_f32_e32 v53, v29
	v_cvt_i32_f32_e32 v49, v49
	v_mul_f32_e32 v30, 0x3fb8aa3b, v7
	v_cndmask_b32_e32 v1, 0x7f800000, v24, vcc_lo
	v_cmp_nlt_f32_e32 vcc_lo, 0x42b17218, v2
	v_exp_f32_e32 v24, v27
	v_fmac_f32_e32 v52, 0x32a5705f, v6
	v_sub_f32_e32 v29, v29, v53
	v_cndmask_b32_e64 v1, 0, v1, s17
	v_cndmask_b32_e32 v2, 0x7f800000, v25, vcc_lo
	v_cmp_ngt_f32_e32 vcc_lo, 0xc2ce8ed0, v3
	v_add_f32_e32 v25, v28, v50
	v_fma_f32 v54, 0x3fb8aa3b, v7, -v30
	v_rndne_f32_e32 v55, v30
	v_add_f32_e32 v27, v2, v1
	v_cndmask_b32_e32 v26, 0, v26, vcc_lo
	v_cmp_nlt_f32_e32 vcc_lo, 0x42b17218, v3
	v_exp_f32_e32 v25, v25
	v_ldexp_f32 v24, v24, v49
	v_cvt_i32_f32_e32 v51, v51
	v_mul_f32_e32 v31, 0x3fb8aa3b, v8
	v_cndmask_b32_e32 v3, 0x7f800000, v26, vcc_lo
	v_cndmask_b32_e64 v26, v1, v27, s0
	v_cmp_ngt_f32_e32 vcc_lo, 0xc2ce8ed0, v4
	v_add_f32_e32 v27, v29, v52
	v_fmac_f32_e32 v54, 0x32a5705f, v7
	v_sub_f32_e32 v30, v30, v55
	v_add_f32_e32 v29, v26, v3
	v_cndmask_b32_e32 v24, 0, v24, vcc_lo
	v_cmp_nlt_f32_e32 vcc_lo, 0x42b17218, v4
	v_exp_f32_e32 v27, v27
	v_ldexp_f32 v25, v25, v51
	v_fma_f32 v56, 0x3fb8aa3b, v8, -v31
	v_rndne_f32_e32 v57, v31
	v_cndmask_b32_e32 v4, 0x7f800000, v24, vcc_lo
	v_cndmask_b32_e64 v24, v26, v29, s1
	v_cmp_ngt_f32_e32 vcc_lo, 0xc2ce8ed0, v5
	v_cvt_i32_f32_e32 v53, v53
	v_add_f32_e32 v26, v30, v54
	v_mul_f32_e32 v32, 0x3fb8aa3b, v9
	v_add_f32_e32 v30, v24, v4
	v_cndmask_b32_e32 v25, 0, v25, vcc_lo
	v_cmp_nlt_f32_e32 vcc_lo, 0x42b17218, v5
	v_fmac_f32_e32 v56, 0x32a5705f, v8
	v_sub_f32_e32 v31, v31, v57
	v_exp_f32_e32 v26, v26
	v_ldexp_f32 v27, v27, v53
	v_cndmask_b32_e32 v5, 0x7f800000, v25, vcc_lo
	v_cndmask_b32_e64 v24, v24, v30, s2
	v_cmp_ngt_f32_e32 vcc_lo, 0xc2ce8ed0, v6
	v_fma_f32 v58, 0x3fb8aa3b, v9, -v32
	v_rndne_f32_e32 v59, v32
	v_cvt_i32_f32_e32 v55, v55
	v_add_f32_e32 v25, v31, v56
	v_cndmask_b32_e32 v27, 0, v27, vcc_lo
	v_add_f32_e32 v30, v24, v5
	v_cmp_nlt_f32_e32 vcc_lo, 0x42b17218, v6
	v_mul_f32_e32 v33, 0x3fb8aa3b, v10
	v_fmac_f32_e32 v58, 0x32a5705f, v9
	v_sub_f32_e32 v32, v32, v59
	v_exp_f32_e32 v25, v25
	v_ldexp_f32 v26, v26, v55
	v_cndmask_b32_e32 v6, 0x7f800000, v27, vcc_lo
	v_cndmask_b32_e64 v24, v24, v30, s3
	v_cmp_ngt_f32_e32 vcc_lo, 0xc2ce8ed0, v7
	v_fma_f32 v60, 0x3fb8aa3b, v10, -v33
	v_rndne_f32_e32 v61, v33
	v_cvt_i32_f32_e32 v57, v57
	v_add_f32_e32 v27, v32, v58
	v_cndmask_b32_e32 v26, 0, v26, vcc_lo
	v_add_f32_e32 v31, v24, v6
	v_cmp_nlt_f32_e32 vcc_lo, 0x42b17218, v7
	v_mul_f32_e32 v34, 0x3fb8aa3b, v11
	;; [unrolled: 15-line block ×9, first 2 shown]
	v_fmac_f32_e32 v93, 0x32a5705f, v17
	v_sub_f32_e32 v28, v40, v94
	v_exp_f32_e32 v26, v26
	v_ldexp_f32 v27, v27, v31
	v_cndmask_b32_e32 v14, 0x7f800000, v25, vcc_lo
	v_cndmask_b32_e64 v24, v24, v29, s11
	v_cmp_ngt_f32_e32 vcc_lo, 0xc2ce8ed0, v15
	v_fma_f32 v95, 0x3fb8aa3b, v18, -v41
	v_rndne_f32_e32 v96, v41
	v_cvt_i32_f32_e32 v33, v92
	v_add_f32_e32 v25, v28, v93
	v_cndmask_b32_e32 v27, 0, v27, vcc_lo
	v_add_f32_e32 v29, v24, v14
	v_cmp_nlt_f32_e32 vcc_lo, 0x42b17218, v15
	v_fmac_f32_e32 v95, 0x32a5705f, v18
	v_sub_f32_e32 v28, v41, v96
	v_exp_f32_e32 v25, v25
	v_ldexp_f32 v26, v26, v33
	v_cndmask_b32_e32 v15, 0x7f800000, v27, vcc_lo
	v_cndmask_b32_e64 v24, v24, v29, s12
	v_cmp_ngt_f32_e32 vcc_lo, 0xc2ce8ed0, v16
	v_add_f32_e32 v27, v28, v95
	v_cvt_i32_f32_e32 v28, v94
	v_cndmask_b32_e64 v2, 0, v2, s0
	v_add_f32_e32 v29, v24, v15
	v_cndmask_b32_e32 v26, 0, v26, vcc_lo
	v_cmp_nlt_f32_e32 vcc_lo, 0x42b17218, v16
	v_exp_f32_e32 v27, v27
	v_ldexp_f32 v25, v25, v28
	v_cndmask_b32_e64 v24, v24, v29, s13
	v_cndmask_b32_e64 v3, 0, v3, s1
	v_cndmask_b32_e32 v16, 0x7f800000, v26, vcc_lo
	v_cmp_ngt_f32_e32 vcc_lo, 0xc2ce8ed0, v17
	v_cvt_i32_f32_e32 v26, v96
	v_cndmask_b32_e64 v4, 0, v4, s2
	v_cndmask_b32_e64 v5, 0, v5, s3
	v_add_f32_e32 v28, v24, v16
	v_cndmask_b32_e32 v25, 0, v25, vcc_lo
	v_cmp_nlt_f32_e32 vcc_lo, 0x42b17218, v17
	v_ldexp_f32 v26, v27, v26
	v_cndmask_b32_e64 v6, 0, v6, s4
	v_cndmask_b32_e64 v24, v24, v28, s14
	;; [unrolled: 1-line block ×3, first 2 shown]
	v_cndmask_b32_e32 v17, 0x7f800000, v25, vcc_lo
	v_cmp_ngt_f32_e32 vcc_lo, 0xc2ce8ed0, v18
	v_cndmask_b32_e64 v8, 0, v8, s6
	v_cndmask_b32_e64 v9, 0, v9, s7
	;; [unrolled: 1-line block ×4, first 2 shown]
	v_cndmask_b32_e32 v25, 0, v26, vcc_lo
	v_add_f32_e32 v26, v24, v17
	v_cmp_nlt_f32_e32 vcc_lo, 0x42b17218, v18
	v_cndmask_b32_e64 v12, 0, v12, s10
	v_cndmask_b32_e64 v13, 0, v13, s11
	;; [unrolled: 1-line block ×4, first 2 shown]
	v_cndmask_b32_e32 v18, 0x7f800000, v25, vcc_lo
	v_cndmask_b32_e64 v15, 0, v15, s13
	v_cndmask_b32_e64 v16, 0, v16, s14
	;; [unrolled: 1-line block ×3, first 2 shown]
	v_add_f32_e32 v25, v24, v18
	v_cndmask_b32_e64 v18, 0, v18, s16
	v_cndmask_b32_e64 v24, v24, v25, s16
	ds_bpermute_b32 v19, v19, v24
	s_waitcnt lgkmcnt(0)
	v_add_f32_e32 v19, v24, v19
	ds_bpermute_b32 v20, v20, v19
	s_waitcnt lgkmcnt(0)
	v_add_f32_e32 v19, v19, v20
	;; [unrolled: 3-line block ×5, first 2 shown]
	v_div_scale_f32 v20, null, v19, v19, 1.0
	v_div_scale_f32 v23, vcc_lo, 1.0, v19, 1.0
	v_rcp_f32_e32 v21, v20
	v_fma_f32 v22, -v20, v21, 1.0
	v_fmac_f32_e32 v21, v22, v21
	v_mul_f32_e32 v22, v23, v21
	v_fma_f32 v24, -v20, v22, v23
	v_fmac_f32_e32 v22, v24, v21
	v_fma_f32 v20, -v20, v22, v23
	v_div_fmas_f32 v20, v20, v21, v22
	v_div_fixup_f32 v19, v20, v19, 1.0
	v_mul_f32_e32 v20, v1, v19
	v_mul_f32_e32 v21, v2, v19
	;; [unrolled: 1-line block ×18, first 2 shown]
	v_cndmask_b32_e64 v1, v1, v20, s17
	v_cndmask_b32_e64 v2, v2, v21, s0
	;; [unrolled: 1-line block ×18, first 2 shown]
.LBB10_42:
	v_mul_lo_u32 v19, v66, s25
	s_mov_b32 s0, exec_lo
	v_ashrrev_i32_e32 v20, 31, v19
	v_lshlrev_b64 v[19:20], 2, v[19:20]
	v_add_co_u32 v19, vcc_lo, s18, v19
	v_add_co_ci_u32_e64 v20, null, s19, v20, vcc_lo
	v_cmpx_gt_i32_e64 s25, v0
	s_cbranch_execnz .LBB10_62
; %bb.43:
	s_or_b32 exec_lo, exec_lo, s0
	s_mov_b32 s0, exec_lo
	v_cmpx_gt_i32_e64 s25, v84
	s_cbranch_execnz .LBB10_63
.LBB10_44:
	s_or_b32 exec_lo, exec_lo, s0
	s_mov_b32 s0, exec_lo
	v_cmpx_gt_i32_e64 s25, v83
	s_cbranch_execnz .LBB10_64
.LBB10_45:
	s_or_b32 exec_lo, exec_lo, s0
	s_mov_b32 s0, exec_lo
	v_cmpx_gt_i32_e64 s25, v82
	s_cbranch_execnz .LBB10_65
.LBB10_46:
	s_or_b32 exec_lo, exec_lo, s0
	s_mov_b32 s0, exec_lo
	v_cmpx_gt_i32_e64 s25, v81
	s_cbranch_execnz .LBB10_66
.LBB10_47:
	s_or_b32 exec_lo, exec_lo, s0
	s_mov_b32 s0, exec_lo
	v_cmpx_gt_i32_e64 s25, v80
	s_cbranch_execnz .LBB10_67
.LBB10_48:
	s_or_b32 exec_lo, exec_lo, s0
	s_mov_b32 s0, exec_lo
	v_cmpx_gt_i32_e64 s25, v79
	s_cbranch_execnz .LBB10_68
.LBB10_49:
	s_or_b32 exec_lo, exec_lo, s0
	s_mov_b32 s0, exec_lo
	v_cmpx_gt_i32_e64 s25, v78
	s_cbranch_execnz .LBB10_69
.LBB10_50:
	s_or_b32 exec_lo, exec_lo, s0
	s_mov_b32 s0, exec_lo
	v_cmpx_gt_i32_e64 s25, v77
	s_cbranch_execnz .LBB10_70
.LBB10_51:
	s_or_b32 exec_lo, exec_lo, s0
	s_mov_b32 s0, exec_lo
	v_cmpx_gt_i32_e64 s25, v76
	s_cbranch_execnz .LBB10_71
.LBB10_52:
	s_or_b32 exec_lo, exec_lo, s0
	s_mov_b32 s0, exec_lo
	v_cmpx_gt_i32_e64 s25, v75
	s_cbranch_execnz .LBB10_72
.LBB10_53:
	s_or_b32 exec_lo, exec_lo, s0
	s_mov_b32 s0, exec_lo
	v_cmpx_gt_i32_e64 s25, v74
	s_cbranch_execnz .LBB10_73
.LBB10_54:
	s_or_b32 exec_lo, exec_lo, s0
	s_mov_b32 s0, exec_lo
	v_cmpx_gt_i32_e64 s25, v73
	s_cbranch_execnz .LBB10_74
.LBB10_55:
	s_or_b32 exec_lo, exec_lo, s0
	s_mov_b32 s0, exec_lo
	v_cmpx_gt_i32_e64 s25, v72
	s_cbranch_execnz .LBB10_75
.LBB10_56:
	s_or_b32 exec_lo, exec_lo, s0
	s_mov_b32 s0, exec_lo
	v_cmpx_gt_i32_e64 s25, v71
	s_cbranch_execnz .LBB10_76
.LBB10_57:
	s_or_b32 exec_lo, exec_lo, s0
	s_mov_b32 s0, exec_lo
	v_cmpx_gt_i32_e64 s25, v70
	s_cbranch_execnz .LBB10_77
.LBB10_58:
	s_or_b32 exec_lo, exec_lo, s0
	s_mov_b32 s0, exec_lo
	v_cmpx_gt_i32_e64 s25, v69
	s_cbranch_execnz .LBB10_78
.LBB10_59:
	s_or_b32 exec_lo, exec_lo, s0
	v_cmp_gt_i32_e32 vcc_lo, s25, v68
	s_and_b32 exec_lo, exec_lo, vcc_lo
	s_cbranch_execz .LBB10_61
.LBB10_60:
	v_lshlrev_b32_e32 v0, 2, v68
	v_mul_f32_e32 v2, s27, v18
	v_add_co_u32 v0, vcc_lo, v19, v0
	v_add_co_ci_u32_e64 v1, null, 0, v20, vcc_lo
	global_store_dword v[0:1], v2, off
.LBB10_61:
	s_endpgm
.LBB10_62:
	v_add_co_u32 v21, vcc_lo, v19, v67
	v_add_co_ci_u32_e64 v22, null, 0, v20, vcc_lo
	v_mul_f32_e32 v0, s27, v1
	global_store_dword v[21:22], v0, off
	s_or_b32 exec_lo, exec_lo, s0
	s_mov_b32 s0, exec_lo
	v_cmpx_gt_i32_e64 s25, v84
	s_cbranch_execz .LBB10_44
.LBB10_63:
	v_add_co_u32 v0, vcc_lo, v19, v67
	v_add_co_ci_u32_e64 v1, null, 0, v20, vcc_lo
	v_mul_f32_e32 v2, s27, v2
	global_store_dword v[0:1], v2, off offset:128
	s_or_b32 exec_lo, exec_lo, s0
	s_mov_b32 s0, exec_lo
	v_cmpx_gt_i32_e64 s25, v83
	s_cbranch_execz .LBB10_45
.LBB10_64:
	v_add_co_u32 v0, vcc_lo, v19, v67
	v_add_co_ci_u32_e64 v1, null, 0, v20, vcc_lo
	v_mul_f32_e32 v2, s27, v3
	global_store_dword v[0:1], v2, off offset:256
	s_or_b32 exec_lo, exec_lo, s0
	s_mov_b32 s0, exec_lo
	v_cmpx_gt_i32_e64 s25, v82
	s_cbranch_execz .LBB10_46
.LBB10_65:
	v_add_co_u32 v0, vcc_lo, v19, v67
	v_add_co_ci_u32_e64 v1, null, 0, v20, vcc_lo
	v_mul_f32_e32 v2, s27, v4
	global_store_dword v[0:1], v2, off offset:384
	s_or_b32 exec_lo, exec_lo, s0
	s_mov_b32 s0, exec_lo
	v_cmpx_gt_i32_e64 s25, v81
	s_cbranch_execz .LBB10_47
.LBB10_66:
	v_add_co_u32 v0, vcc_lo, v19, v67
	v_add_co_ci_u32_e64 v1, null, 0, v20, vcc_lo
	v_mul_f32_e32 v2, s27, v5
	global_store_dword v[0:1], v2, off offset:512
	s_or_b32 exec_lo, exec_lo, s0
	s_mov_b32 s0, exec_lo
	v_cmpx_gt_i32_e64 s25, v80
	s_cbranch_execz .LBB10_48
.LBB10_67:
	v_add_co_u32 v0, vcc_lo, v19, v67
	v_add_co_ci_u32_e64 v1, null, 0, v20, vcc_lo
	v_mul_f32_e32 v2, s27, v6
	global_store_dword v[0:1], v2, off offset:640
	s_or_b32 exec_lo, exec_lo, s0
	s_mov_b32 s0, exec_lo
	v_cmpx_gt_i32_e64 s25, v79
	s_cbranch_execz .LBB10_49
.LBB10_68:
	v_add_co_u32 v0, vcc_lo, v19, v67
	v_add_co_ci_u32_e64 v1, null, 0, v20, vcc_lo
	v_mul_f32_e32 v2, s27, v7
	global_store_dword v[0:1], v2, off offset:768
	s_or_b32 exec_lo, exec_lo, s0
	s_mov_b32 s0, exec_lo
	v_cmpx_gt_i32_e64 s25, v78
	s_cbranch_execz .LBB10_50
.LBB10_69:
	v_add_co_u32 v0, vcc_lo, v19, v67
	v_add_co_ci_u32_e64 v1, null, 0, v20, vcc_lo
	v_mul_f32_e32 v2, s27, v8
	global_store_dword v[0:1], v2, off offset:896
	s_or_b32 exec_lo, exec_lo, s0
	s_mov_b32 s0, exec_lo
	v_cmpx_gt_i32_e64 s25, v77
	s_cbranch_execz .LBB10_51
.LBB10_70:
	v_add_co_u32 v0, vcc_lo, v19, v67
	v_add_co_ci_u32_e64 v1, null, 0, v20, vcc_lo
	v_mul_f32_e32 v2, s27, v9
	global_store_dword v[0:1], v2, off offset:1024
	s_or_b32 exec_lo, exec_lo, s0
	s_mov_b32 s0, exec_lo
	v_cmpx_gt_i32_e64 s25, v76
	s_cbranch_execz .LBB10_52
.LBB10_71:
	v_add_co_u32 v0, vcc_lo, v19, v67
	v_add_co_ci_u32_e64 v1, null, 0, v20, vcc_lo
	v_mul_f32_e32 v2, s27, v10
	global_store_dword v[0:1], v2, off offset:1152
	s_or_b32 exec_lo, exec_lo, s0
	s_mov_b32 s0, exec_lo
	v_cmpx_gt_i32_e64 s25, v75
	s_cbranch_execz .LBB10_53
.LBB10_72:
	v_add_co_u32 v0, vcc_lo, v19, v67
	v_add_co_ci_u32_e64 v1, null, 0, v20, vcc_lo
	v_mul_f32_e32 v2, s27, v11
	global_store_dword v[0:1], v2, off offset:1280
	s_or_b32 exec_lo, exec_lo, s0
	s_mov_b32 s0, exec_lo
	v_cmpx_gt_i32_e64 s25, v74
	s_cbranch_execz .LBB10_54
.LBB10_73:
	v_add_co_u32 v0, vcc_lo, v19, v67
	v_add_co_ci_u32_e64 v1, null, 0, v20, vcc_lo
	v_mul_f32_e32 v2, s27, v12
	global_store_dword v[0:1], v2, off offset:1408
	s_or_b32 exec_lo, exec_lo, s0
	s_mov_b32 s0, exec_lo
	v_cmpx_gt_i32_e64 s25, v73
	s_cbranch_execz .LBB10_55
.LBB10_74:
	v_add_co_u32 v0, vcc_lo, v19, v67
	v_add_co_ci_u32_e64 v1, null, 0, v20, vcc_lo
	v_mul_f32_e32 v2, s27, v13
	global_store_dword v[0:1], v2, off offset:1536
	s_or_b32 exec_lo, exec_lo, s0
	s_mov_b32 s0, exec_lo
	v_cmpx_gt_i32_e64 s25, v72
	s_cbranch_execz .LBB10_56
.LBB10_75:
	v_add_co_u32 v0, vcc_lo, v19, v67
	v_add_co_ci_u32_e64 v1, null, 0, v20, vcc_lo
	v_mul_f32_e32 v2, s27, v14
	global_store_dword v[0:1], v2, off offset:1664
	s_or_b32 exec_lo, exec_lo, s0
	s_mov_b32 s0, exec_lo
	v_cmpx_gt_i32_e64 s25, v71
	s_cbranch_execz .LBB10_57
.LBB10_76:
	v_add_co_u32 v0, vcc_lo, v19, v67
	v_add_co_ci_u32_e64 v1, null, 0, v20, vcc_lo
	v_mul_f32_e32 v2, s27, v15
	global_store_dword v[0:1], v2, off offset:1792
	s_or_b32 exec_lo, exec_lo, s0
	s_mov_b32 s0, exec_lo
	v_cmpx_gt_i32_e64 s25, v70
	s_cbranch_execz .LBB10_58
.LBB10_77:
	v_add_co_u32 v0, vcc_lo, v19, v67
	v_add_co_ci_u32_e64 v1, null, 0, v20, vcc_lo
	v_mul_f32_e32 v2, s27, v16
	global_store_dword v[0:1], v2, off offset:1920
	s_or_b32 exec_lo, exec_lo, s0
	s_mov_b32 s0, exec_lo
	v_cmpx_gt_i32_e64 s25, v69
	s_cbranch_execz .LBB10_59
.LBB10_78:
	v_lshlrev_b32_e32 v0, 2, v69
	v_mul_f32_e32 v2, s27, v17
	v_add_co_u32 v0, vcc_lo, v19, v0
	v_add_co_ci_u32_e64 v1, null, 0, v20, vcc_lo
	global_store_dword v[0:1], v2, off
	s_or_b32 exec_lo, exec_lo, s0
	v_cmp_gt_i32_e32 vcc_lo, s25, v68
	s_and_b32 exec_lo, exec_lo, vcc_lo
	s_cbranch_execnz .LBB10_60
	s_branch .LBB10_61
	.section	.rodata,"a",@progbits
	.p2align	6, 0x0
	.amdhsa_kernel _Z13topk_moe_cudaILi576ELb1EEvPKfPfPiS2_iiff15topk_moe_config
		.amdhsa_group_segment_fixed_size 0
		.amdhsa_private_segment_fixed_size 0
		.amdhsa_kernarg_size 312
		.amdhsa_user_sgpr_count 6
		.amdhsa_user_sgpr_private_segment_buffer 1
		.amdhsa_user_sgpr_dispatch_ptr 0
		.amdhsa_user_sgpr_queue_ptr 0
		.amdhsa_user_sgpr_kernarg_segment_ptr 1
		.amdhsa_user_sgpr_dispatch_id 0
		.amdhsa_user_sgpr_flat_scratch_init 0
		.amdhsa_user_sgpr_private_segment_size 0
		.amdhsa_wavefront_size32 1
		.amdhsa_uses_dynamic_stack 0
		.amdhsa_system_sgpr_private_segment_wavefront_offset 0
		.amdhsa_system_sgpr_workgroup_id_x 1
		.amdhsa_system_sgpr_workgroup_id_y 0
		.amdhsa_system_sgpr_workgroup_id_z 0
		.amdhsa_system_sgpr_workgroup_info 0
		.amdhsa_system_vgpr_workitem_id 1
		.amdhsa_next_free_vgpr 116
		.amdhsa_next_free_sgpr 28
		.amdhsa_reserve_vcc 1
		.amdhsa_reserve_flat_scratch 0
		.amdhsa_float_round_mode_32 0
		.amdhsa_float_round_mode_16_64 0
		.amdhsa_float_denorm_mode_32 3
		.amdhsa_float_denorm_mode_16_64 3
		.amdhsa_dx10_clamp 1
		.amdhsa_ieee_mode 1
		.amdhsa_fp16_overflow 0
		.amdhsa_workgroup_processor_mode 1
		.amdhsa_memory_ordered 1
		.amdhsa_forward_progress 1
		.amdhsa_shared_vgpr_count 0
		.amdhsa_exception_fp_ieee_invalid_op 0
		.amdhsa_exception_fp_denorm_src 0
		.amdhsa_exception_fp_ieee_div_zero 0
		.amdhsa_exception_fp_ieee_overflow 0
		.amdhsa_exception_fp_ieee_underflow 0
		.amdhsa_exception_fp_ieee_inexact 0
		.amdhsa_exception_int_div_zero 0
	.end_amdhsa_kernel
	.section	.text._Z13topk_moe_cudaILi576ELb1EEvPKfPfPiS2_iiff15topk_moe_config,"axG",@progbits,_Z13topk_moe_cudaILi576ELb1EEvPKfPfPiS2_iiff15topk_moe_config,comdat
.Lfunc_end10:
	.size	_Z13topk_moe_cudaILi576ELb1EEvPKfPfPiS2_iiff15topk_moe_config, .Lfunc_end10-_Z13topk_moe_cudaILi576ELb1EEvPKfPfPiS2_iiff15topk_moe_config
                                        ; -- End function
	.set _Z13topk_moe_cudaILi576ELb1EEvPKfPfPiS2_iiff15topk_moe_config.num_vgpr, 116
	.set _Z13topk_moe_cudaILi576ELb1EEvPKfPfPiS2_iiff15topk_moe_config.num_agpr, 0
	.set _Z13topk_moe_cudaILi576ELb1EEvPKfPfPiS2_iiff15topk_moe_config.numbered_sgpr, 28
	.set _Z13topk_moe_cudaILi576ELb1EEvPKfPfPiS2_iiff15topk_moe_config.num_named_barrier, 0
	.set _Z13topk_moe_cudaILi576ELb1EEvPKfPfPiS2_iiff15topk_moe_config.private_seg_size, 0
	.set _Z13topk_moe_cudaILi576ELb1EEvPKfPfPiS2_iiff15topk_moe_config.uses_vcc, 1
	.set _Z13topk_moe_cudaILi576ELb1EEvPKfPfPiS2_iiff15topk_moe_config.uses_flat_scratch, 0
	.set _Z13topk_moe_cudaILi576ELb1EEvPKfPfPiS2_iiff15topk_moe_config.has_dyn_sized_stack, 0
	.set _Z13topk_moe_cudaILi576ELb1EEvPKfPfPiS2_iiff15topk_moe_config.has_recursion, 0
	.set _Z13topk_moe_cudaILi576ELb1EEvPKfPfPiS2_iiff15topk_moe_config.has_indirect_call, 0
	.section	.AMDGPU.csdata,"",@progbits
; Kernel info:
; codeLenInByte = 13236
; TotalNumSgprs: 30
; NumVgprs: 116
; ScratchSize: 0
; MemoryBound: 0
; FloatMode: 240
; IeeeMode: 1
; LDSByteSize: 0 bytes/workgroup (compile time only)
; SGPRBlocks: 0
; VGPRBlocks: 14
; NumSGPRsForWavesPerEU: 30
; NumVGPRsForWavesPerEU: 116
; Occupancy: 8
; WaveLimiterHint : 1
; COMPUTE_PGM_RSRC2:SCRATCH_EN: 0
; COMPUTE_PGM_RSRC2:USER_SGPR: 6
; COMPUTE_PGM_RSRC2:TRAP_HANDLER: 0
; COMPUTE_PGM_RSRC2:TGID_X_EN: 1
; COMPUTE_PGM_RSRC2:TGID_Y_EN: 0
; COMPUTE_PGM_RSRC2:TGID_Z_EN: 0
; COMPUTE_PGM_RSRC2:TIDIG_COMP_CNT: 1
	.section	.text._Z13topk_moe_cudaILi1ELb0EEvPKfPfPiS2_iiff15topk_moe_config,"axG",@progbits,_Z13topk_moe_cudaILi1ELb0EEvPKfPfPiS2_iiff15topk_moe_config,comdat
	.protected	_Z13topk_moe_cudaILi1ELb0EEvPKfPfPiS2_iiff15topk_moe_config ; -- Begin function _Z13topk_moe_cudaILi1ELb0EEvPKfPfPiS2_iiff15topk_moe_config
	.globl	_Z13topk_moe_cudaILi1ELb0EEvPKfPfPiS2_iiff15topk_moe_config
	.p2align	8
	.type	_Z13topk_moe_cudaILi1ELb0EEvPKfPfPiS2_iiff15topk_moe_config,@function
_Z13topk_moe_cudaILi1ELb0EEvPKfPfPiS2_iiff15topk_moe_config: ; @_Z13topk_moe_cudaILi1ELb0EEvPKfPfPiS2_iiff15topk_moe_config
; %bb.0:
	s_clause 0x1
	s_load_dword s0, s[4:5], 0x44
	s_load_dwordx4 s[8:11], s[4:5], 0x20
	s_waitcnt lgkmcnt(0)
	s_lshr_b32 s0, s0, 16
	v_mad_u64_u32 v[1:2], null, s6, s0, v[1:2]
	s_mov_b32 s0, exec_lo
	v_cmpx_gt_i32_e64 s8, v1
	s_cbranch_execz .LBB11_41
; %bb.1:
	v_mov_b32_e32 v2, 0
	v_mov_b32_e32 v7, 0xff800000
	s_mov_b32 s7, exec_lo
	s_clause 0x1
	global_load_ushort v4, v2, s[4:5] offset:48
	global_load_sbyte v5, v2, s[4:5] offset:50
	s_clause 0x1
	s_load_dwordx4 s[0:3], s[4:5], 0x0
	s_load_dwordx2 s[4:5], s[4:5], 0x10
	v_ashrrev_i32_e32 v2, 31, v1
	v_lshlrev_b64 v[2:3], 2, v[1:2]
	s_waitcnt vmcnt(1)
	v_readfirstlane_b32 s6, v4
	v_cmpx_eq_u32_e32 0, v0
	s_cbranch_execz .LBB11_3
; %bb.2:
	s_waitcnt lgkmcnt(0)
	v_add_co_u32 v6, vcc_lo, s0, v2
	v_add_co_ci_u32_e64 v7, null, s1, v3, vcc_lo
	global_load_dword v7, v[6:7], off
.LBB11_3:
	s_or_b32 exec_lo, exec_lo, s7
	s_waitcnt vmcnt(0)
	v_and_b32_e32 v5, 1, v5
	s_waitcnt lgkmcnt(0)
	v_cmp_eq_u32_e64 s0, 1, v5
	s_and_b32 vcc_lo, exec_lo, s0
	s_cbranch_vccnz .LBB11_9
; %bb.4:
	v_and_b32_e32 v4, 1, v4
	s_mov_b32 s1, 0
	v_cmp_eq_u32_e32 vcc_lo, 0, v4
	s_cbranch_vccz .LBB11_6
; %bb.5:
	v_mbcnt_lo_u32_b32 v4, -1, 0
	v_max_f32_e32 v6, v7, v7
	v_xor_b32_e32 v5, 16, v4
	v_max_f32_e32 v6, 0xff800000, v6
	v_xor_b32_e32 v9, 8, v4
	v_xor_b32_e32 v10, 4, v4
	v_xor_b32_e32 v11, 2, v4
	v_cmp_gt_i32_e32 vcc_lo, 32, v5
	v_xor_b32_e32 v12, 1, v4
	v_cndmask_b32_e32 v5, v4, v5, vcc_lo
	v_cmp_gt_i32_e32 vcc_lo, 32, v9
	v_lshlrev_b32_e32 v5, 2, v5
	v_cndmask_b32_e32 v9, v4, v9, vcc_lo
	v_cmp_gt_i32_e32 vcc_lo, 32, v10
	ds_bpermute_b32 v8, v5, v6
	v_lshlrev_b32_e32 v9, 2, v9
	v_cndmask_b32_e32 v10, v4, v10, vcc_lo
	v_cmp_gt_i32_e32 vcc_lo, 32, v11
	v_lshlrev_b32_e32 v10, 2, v10
	v_cndmask_b32_e32 v11, v4, v11, vcc_lo
	v_cmp_gt_i32_e32 vcc_lo, 32, v12
	v_lshlrev_b32_e32 v11, 2, v11
	v_cndmask_b32_e32 v4, v4, v12, vcc_lo
	v_lshlrev_b32_e32 v4, 2, v4
	s_waitcnt lgkmcnt(0)
	v_max_f32_e32 v8, v8, v8
	v_max_f32_e32 v6, v6, v8
	ds_bpermute_b32 v8, v9, v6
	s_waitcnt lgkmcnt(0)
	v_max_f32_e32 v8, v8, v8
	v_max_f32_e32 v6, v6, v8
	ds_bpermute_b32 v8, v10, v6
	;; [unrolled: 4-line block ×4, first 2 shown]
	s_waitcnt lgkmcnt(0)
	v_max_f32_e32 v8, v8, v8
	v_max_f32_e32 v6, v6, v8
	v_sub_f32_e32 v6, v7, v6
	v_mul_f32_e32 v8, 0x3fb8aa3b, v6
	v_cmp_ngt_f32_e32 vcc_lo, 0xc2ce8ed0, v6
	v_fma_f32 v12, 0x3fb8aa3b, v6, -v8
	v_rndne_f32_e32 v13, v8
	v_fmamk_f32 v12, v6, 0x32a5705f, v12
	v_sub_f32_e32 v8, v8, v13
	v_add_f32_e32 v8, v8, v12
	v_cvt_i32_f32_e32 v12, v13
	v_exp_f32_e32 v8, v8
	v_ldexp_f32 v8, v8, v12
	v_cndmask_b32_e32 v8, 0, v8, vcc_lo
	v_cmp_nlt_f32_e32 vcc_lo, 0x42b17218, v6
	v_cndmask_b32_e32 v6, 0x7f800000, v8, vcc_lo
	ds_bpermute_b32 v5, v5, v6
	s_waitcnt lgkmcnt(0)
	v_add_f32_e32 v5, v6, v5
	ds_bpermute_b32 v8, v9, v5
	s_waitcnt lgkmcnt(0)
	v_add_f32_e32 v5, v5, v8
	;; [unrolled: 3-line block ×5, first 2 shown]
	v_div_scale_f32 v5, null, v4, v4, 1.0
	v_rcp_f32_e32 v8, v5
	v_fma_f32 v9, -v5, v8, 1.0
	v_fmac_f32_e32 v8, v9, v8
	v_div_scale_f32 v9, vcc_lo, 1.0, v4, 1.0
	v_mul_f32_e32 v10, v9, v8
	v_fma_f32 v11, -v5, v10, v9
	v_fmac_f32_e32 v10, v11, v8
	v_fma_f32 v5, -v5, v10, v9
	v_div_fmas_f32 v5, v5, v8, v10
	v_div_fixup_f32 v4, v5, v4, 1.0
	v_mul_f32_e32 v4, v6, v4
	s_andn2_b32 vcc_lo, exec_lo, s1
	s_cbranch_vccz .LBB11_7
	s_branch .LBB11_8
.LBB11_6:
                                        ; implicit-def: $vgpr4
.LBB11_7:
	v_mul_f32_e32 v4, 0xbfb8aa3b, v7
	v_cmp_nlt_f32_e32 vcc_lo, 0x42ce8ed0, v7
	v_rndne_f32_e32 v5, v4
	v_fma_f32 v6, 0xbfb8aa3b, v7, -v4
	v_sub_f32_e32 v4, v4, v5
	v_fmamk_f32 v6, v7, 0xb2a5705f, v6
	v_cvt_i32_f32_e32 v5, v5
	v_add_f32_e32 v4, v4, v6
	v_exp_f32_e32 v4, v4
	v_ldexp_f32 v4, v4, v5
	v_cndmask_b32_e32 v4, 0, v4, vcc_lo
	v_cmp_ngt_f32_e32 vcc_lo, 0xc2b17218, v7
	v_cndmask_b32_e32 v4, 0x7f800000, v4, vcc_lo
	v_add_f32_e32 v4, 1.0, v4
	v_div_scale_f32 v5, null, v4, v4, 1.0
	v_rcp_f32_e32 v6, v5
	v_fma_f32 v7, -v5, v6, 1.0
	v_fmac_f32_e32 v6, v7, v6
	v_div_scale_f32 v7, vcc_lo, 1.0, v4, 1.0
	v_mul_f32_e32 v8, v7, v6
	v_fma_f32 v9, -v5, v8, v7
	v_fmac_f32_e32 v8, v9, v6
	v_fma_f32 v5, -v5, v8, v7
	v_div_fmas_f32 v5, v5, v6, v8
	v_div_fixup_f32 v4, v5, v4, 1.0
.LBB11_8:
	v_mov_b32_e32 v7, v4
.LBB11_9:
	s_lshr_b32 s1, s6, 8
	s_cmp_gt_i32 s9, 0
	s_mov_b32 s7, 0
	s_cbranch_scc1 .LBB11_11
; %bb.10:
	s_bitcmp1_b32 s1, 0
	s_cselect_b32 s6, -1, 0
	s_branch .LBB11_12
.LBB11_11:
	s_mov_b32 s7, -1
                                        ; implicit-def: $sgpr6
.LBB11_12:
	v_mov_b32_e32 v6, 0
	v_mbcnt_lo_u32_b32 v4, -1, 0
	v_mov_b32_e32 v5, 0
	s_andn2_b32 vcc_lo, exec_lo, s7
	s_cbranch_vccnz .LBB11_37
; %bb.13:
	v_add_co_u32 v2, vcc_lo, s4, v2
	v_xor_b32_e32 v5, 16, v4
	v_add_co_ci_u32_e64 v3, null, s5, v3, vcc_lo
	v_cmp_o_f32_e32 vcc_lo, v7, v7
	v_xor_b32_e32 v6, 8, v4
	v_xor_b32_e32 v8, 4, v4
	;; [unrolled: 1-line block ×4, first 2 shown]
	v_cndmask_b32_e32 v7, 0xff7fffff, v7, vcc_lo
	v_cmp_gt_i32_e32 vcc_lo, 32, v5
	s_bitcmp1_b32 s1, 0
	s_mov_b32 s4, 0
	s_cselect_b32 s6, -1, 0
	v_cndmask_b32_e32 v5, v4, v5, vcc_lo
	v_cmp_gt_i32_e32 vcc_lo, 32, v6
	v_cndmask_b32_e32 v6, v4, v6, vcc_lo
	v_cmp_gt_i32_e32 vcc_lo, 32, v8
	v_cndmask_b32_e32 v11, v4, v8, vcc_lo
	v_cmp_gt_i32_e32 vcc_lo, 32, v9
	v_lshlrev_b32_e32 v8, 2, v5
	v_mov_b32_e32 v5, 0
	v_cndmask_b32_e32 v12, v4, v9, vcc_lo
	v_cmp_gt_i32_e32 vcc_lo, 32, v10
	v_lshlrev_b32_e32 v9, 2, v6
	v_mov_b32_e32 v6, 0
	v_cndmask_b32_e32 v13, v4, v10, vcc_lo
	v_lshlrev_b32_e32 v10, 2, v11
	v_lshlrev_b32_e32 v11, 2, v12
	;; [unrolled: 1-line block ×3, first 2 shown]
	s_branch .LBB11_15
.LBB11_14:                              ;   in Loop: Header=BB11_15 Depth=1
	s_or_b32 exec_lo, exec_lo, s1
	s_and_b32 s1, s4, 31
	v_cndmask_b32_e64 v7, v7, 0xff800000, vcc_lo
	v_cmp_eq_u32_e32 vcc_lo, s1, v0
	s_add_i32 s4, s4, 1
	s_cmp_eq_u32 s9, s4
	v_cndmask_b32_e32 v5, v5, v13, vcc_lo
	v_add_co_u32 v2, vcc_lo, v2, 4
	v_add_co_ci_u32_e64 v3, null, 0, v3, vcc_lo
	s_cbranch_scc1 .LBB11_37
.LBB11_15:                              ; =>This Inner Loop Header: Depth=1
	s_waitcnt lgkmcnt(0)
	ds_bpermute_b32 v16, v8, v7
	ds_bpermute_b32 v17, v8, v0
	s_mov_b32 s7, exec_lo
	s_waitcnt lgkmcnt(1)
	v_cmp_lt_f32_e64 s5, v7, v16
	v_cmpx_nlt_f32_e32 v7, v16
	s_cbranch_execz .LBB11_17
; %bb.16:                               ;   in Loop: Header=BB11_15 Depth=1
	v_cmp_eq_f32_e32 vcc_lo, v7, v16
	s_waitcnt lgkmcnt(0)
	v_cmp_lt_i32_e64 s1, v17, v0
	s_andn2_b32 s5, s5, exec_lo
	s_and_b32 s1, vcc_lo, s1
	s_and_b32 s1, s1, exec_lo
	s_or_b32 s5, s5, s1
.LBB11_17:                              ;   in Loop: Header=BB11_15 Depth=1
	s_or_b32 exec_lo, exec_lo, s7
	v_mov_b32_e32 v15, v7
	v_mov_b32_e32 v13, v7
	;; [unrolled: 1-line block ×3, first 2 shown]
	s_and_saveexec_b32 s1, s5
	s_cbranch_execz .LBB11_19
; %bb.18:                               ;   in Loop: Header=BB11_15 Depth=1
	v_mov_b32_e32 v15, v16
	v_mov_b32_e32 v13, v16
	s_waitcnt lgkmcnt(0)
	v_mov_b32_e32 v14, v17
.LBB11_19:                              ;   in Loop: Header=BB11_15 Depth=1
	s_or_b32 exec_lo, exec_lo, s1
	ds_bpermute_b32 v16, v9, v15
	s_waitcnt lgkmcnt(1)
	ds_bpermute_b32 v17, v9, v14
	s_mov_b32 s7, exec_lo
	s_waitcnt lgkmcnt(1)
	v_cmp_lt_f32_e64 s5, v13, v16
	v_cmpx_nlt_f32_e32 v13, v16
	s_cbranch_execz .LBB11_21
; %bb.20:                               ;   in Loop: Header=BB11_15 Depth=1
	v_cmp_eq_f32_e32 vcc_lo, v13, v16
	s_waitcnt lgkmcnt(0)
	v_cmp_lt_i32_e64 s1, v17, v14
	s_andn2_b32 s5, s5, exec_lo
	s_and_b32 s1, vcc_lo, s1
	s_and_b32 s1, s1, exec_lo
	s_or_b32 s5, s5, s1
.LBB11_21:                              ;   in Loop: Header=BB11_15 Depth=1
	s_or_b32 exec_lo, exec_lo, s7
	s_and_saveexec_b32 s1, s5
	s_cbranch_execz .LBB11_23
; %bb.22:                               ;   in Loop: Header=BB11_15 Depth=1
	v_mov_b32_e32 v15, v16
	v_mov_b32_e32 v13, v16
	s_waitcnt lgkmcnt(0)
	v_mov_b32_e32 v14, v17
.LBB11_23:                              ;   in Loop: Header=BB11_15 Depth=1
	s_or_b32 exec_lo, exec_lo, s1
	ds_bpermute_b32 v16, v10, v15
	s_waitcnt lgkmcnt(1)
	ds_bpermute_b32 v17, v10, v14
	s_mov_b32 s7, exec_lo
	s_waitcnt lgkmcnt(1)
	v_cmp_lt_f32_e64 s5, v13, v16
	v_cmpx_nlt_f32_e32 v13, v16
	s_cbranch_execz .LBB11_25
; %bb.24:                               ;   in Loop: Header=BB11_15 Depth=1
	v_cmp_eq_f32_e32 vcc_lo, v13, v16
	s_waitcnt lgkmcnt(0)
	v_cmp_lt_i32_e64 s1, v17, v14
	s_andn2_b32 s5, s5, exec_lo
	s_and_b32 s1, vcc_lo, s1
	s_and_b32 s1, s1, exec_lo
	s_or_b32 s5, s5, s1
.LBB11_25:                              ;   in Loop: Header=BB11_15 Depth=1
	s_or_b32 exec_lo, exec_lo, s7
	;; [unrolled: 27-line block ×3, first 2 shown]
	s_and_saveexec_b32 s1, s5
	s_cbranch_execz .LBB11_31
; %bb.30:                               ;   in Loop: Header=BB11_15 Depth=1
	v_mov_b32_e32 v15, v16
	v_mov_b32_e32 v13, v16
	s_waitcnt lgkmcnt(0)
	v_mov_b32_e32 v14, v17
.LBB11_31:                              ;   in Loop: Header=BB11_15 Depth=1
	s_or_b32 exec_lo, exec_lo, s1
	ds_bpermute_b32 v15, v12, v15
	ds_bpermute_b32 v16, v12, v14
	s_mov_b32 s7, exec_lo
	s_waitcnt lgkmcnt(1)
	v_cmp_lt_f32_e64 s5, v13, v15
	v_cmpx_nlt_f32_e32 v13, v15
	s_cbranch_execz .LBB11_33
; %bb.32:                               ;   in Loop: Header=BB11_15 Depth=1
	v_cmp_eq_f32_e32 vcc_lo, v13, v15
	s_waitcnt lgkmcnt(0)
	v_cmp_lt_i32_e64 s1, v16, v14
	s_andn2_b32 s5, s5, exec_lo
	s_and_b32 s1, vcc_lo, s1
	s_and_b32 s1, s1, exec_lo
	s_or_b32 s5, s5, s1
.LBB11_33:                              ;   in Loop: Header=BB11_15 Depth=1
	s_or_b32 exec_lo, exec_lo, s7
	s_and_saveexec_b32 s1, s5
	s_cbranch_execz .LBB11_35
; %bb.34:                               ;   in Loop: Header=BB11_15 Depth=1
	v_mov_b32_e32 v13, v15
	s_waitcnt lgkmcnt(0)
	v_mov_b32_e32 v14, v16
.LBB11_35:                              ;   in Loop: Header=BB11_15 Depth=1
	s_or_b32 exec_lo, exec_lo, s1
	v_and_b32_e32 v15, 31, v14
	v_cmp_eq_u32_e32 vcc_lo, v15, v0
	s_and_saveexec_b32 s1, vcc_lo
	s_cbranch_execz .LBB11_14
; %bb.36:                               ;   in Loop: Header=BB11_15 Depth=1
	v_add_f32_e32 v15, v6, v13
	global_store_dword v[2:3], v14, off
	v_cndmask_b32_e64 v6, v6, v15, s6
	s_branch .LBB11_14
.LBB11_37:
	s_and_b32 vcc_lo, exec_lo, s6
	s_cbranch_vccnz .LBB11_42
; %bb.38:
	v_cmp_gt_i32_e64 s1, s9, v0
	s_andn2_b32 vcc_lo, exec_lo, s0
	s_cbranch_vccz .LBB11_43
.LBB11_39:
	v_cmp_gt_i32_e32 vcc_lo, s9, v0
	s_and_b32 exec_lo, exec_lo, vcc_lo
	s_cbranch_execz .LBB11_41
.LBB11_40:
	v_mul_lo_u32 v1, v1, s9
	v_lshlrev_b32_e32 v0, 2, v0
	v_mul_f32_e32 v3, s11, v5
	v_ashrrev_i32_e32 v2, 31, v1
	v_lshlrev_b64 v[1:2], 2, v[1:2]
	v_add_co_u32 v1, vcc_lo, s2, v1
	v_add_co_ci_u32_e64 v2, null, s3, v2, vcc_lo
	v_add_co_u32 v0, vcc_lo, v1, v0
	v_add_co_ci_u32_e64 v1, null, 0, v2, vcc_lo
	global_store_dword v[0:1], v3, off
.LBB11_41:
	s_endpgm
.LBB11_42:
	v_xor_b32_e32 v2, 16, v4
	v_xor_b32_e32 v3, 8, v4
	v_cmp_gt_i32_e32 vcc_lo, 32, v2
	v_cndmask_b32_e32 v2, v4, v2, vcc_lo
	v_cmp_gt_i32_e32 vcc_lo, 32, v3
	v_lshlrev_b32_e32 v2, 2, v2
	v_cndmask_b32_e32 v3, v4, v3, vcc_lo
	ds_bpermute_b32 v2, v2, v6
	v_lshlrev_b32_e32 v3, 2, v3
	s_waitcnt lgkmcnt(0)
	v_add_f32_e32 v2, v6, v2
	v_xor_b32_e32 v6, 4, v4
	ds_bpermute_b32 v3, v3, v2
	v_cmp_gt_i32_e32 vcc_lo, 32, v6
	v_cndmask_b32_e32 v6, v4, v6, vcc_lo
	v_lshlrev_b32_e32 v6, 2, v6
	s_waitcnt lgkmcnt(0)
	v_add_f32_e32 v2, v2, v3
	ds_bpermute_b32 v3, v6, v2
	v_xor_b32_e32 v6, 2, v4
	v_cmp_gt_i32_e32 vcc_lo, 32, v6
	v_cndmask_b32_e32 v6, v4, v6, vcc_lo
	v_lshlrev_b32_e32 v6, 2, v6
	s_waitcnt lgkmcnt(0)
	v_add_f32_e32 v2, v2, v3
	ds_bpermute_b32 v3, v6, v2
	v_xor_b32_e32 v6, 1, v4
	v_cmp_gt_i32_e32 vcc_lo, 32, v6
	v_cndmask_b32_e32 v6, v4, v6, vcc_lo
	v_lshlrev_b32_e32 v6, 2, v6
	s_waitcnt lgkmcnt(0)
	v_add_f32_e32 v2, v2, v3
	ds_bpermute_b32 v3, v6, v2
	v_max_f32_e64 v6, s10, s10
	s_waitcnt lgkmcnt(0)
	v_add_f32_e32 v2, v2, v3
	v_max_f32_e32 v2, v2, v6
	v_div_scale_f32 v3, null, v2, v2, 1.0
	v_rcp_f32_e32 v6, v3
	v_fma_f32 v7, -v3, v6, 1.0
	v_fmac_f32_e32 v6, v7, v6
	v_div_scale_f32 v7, vcc_lo, 1.0, v2, 1.0
	v_mul_f32_e32 v8, v7, v6
	v_fma_f32 v9, -v3, v8, v7
	v_fmac_f32_e32 v8, v9, v6
	v_fma_f32 v3, -v3, v8, v7
	v_div_fmas_f32 v3, v3, v6, v8
	v_div_fixup_f32 v2, v3, v2, 1.0
	v_mul_f32_e32 v5, v2, v5
	v_cmp_gt_i32_e64 s1, s9, v0
	s_andn2_b32 vcc_lo, exec_lo, s0
	s_cbranch_vccnz .LBB11_39
.LBB11_43:
	v_xor_b32_e32 v3, 16, v4
	v_max_f32_e32 v2, v5, v5
	v_xor_b32_e32 v7, 8, v4
	v_xor_b32_e32 v8, 4, v4
	;; [unrolled: 1-line block ×3, first 2 shown]
	v_cmp_gt_i32_e32 vcc_lo, 32, v3
	v_max_f32_e32 v2, 0xff800000, v2
	v_xor_b32_e32 v10, 1, v4
	v_cndmask_b32_e32 v3, v4, v3, vcc_lo
	v_cndmask_b32_e64 v2, 0xff800000, v2, s1
	v_cmp_gt_i32_e32 vcc_lo, 32, v7
	v_lshlrev_b32_e32 v3, 2, v3
	v_cndmask_b32_e32 v7, v4, v7, vcc_lo
	v_cmp_gt_i32_e32 vcc_lo, 32, v8
	ds_bpermute_b32 v6, v3, v2
	v_lshlrev_b32_e32 v7, 2, v7
	v_cndmask_b32_e32 v8, v4, v8, vcc_lo
	v_cmp_gt_i32_e32 vcc_lo, 32, v9
	v_lshlrev_b32_e32 v8, 2, v8
	v_cndmask_b32_e32 v9, v4, v9, vcc_lo
	v_cmp_gt_i32_e32 vcc_lo, 32, v10
	v_lshlrev_b32_e32 v9, 2, v9
	v_cndmask_b32_e32 v4, v4, v10, vcc_lo
	v_lshlrev_b32_e32 v4, 2, v4
	s_waitcnt lgkmcnt(0)
	v_max_f32_e32 v6, v6, v6
	v_max_f32_e32 v2, v2, v6
	ds_bpermute_b32 v6, v7, v2
	s_waitcnt lgkmcnt(0)
	v_max_f32_e32 v6, v6, v6
	v_max_f32_e32 v2, v2, v6
	ds_bpermute_b32 v6, v8, v2
	;; [unrolled: 4-line block ×4, first 2 shown]
	s_waitcnt lgkmcnt(0)
	v_max_f32_e32 v6, v6, v6
	v_max_f32_e32 v2, v2, v6
	v_sub_f32_e32 v2, v5, v2
	v_mul_f32_e32 v5, 0x3fb8aa3b, v2
	v_cmp_ngt_f32_e32 vcc_lo, 0xc2ce8ed0, v2
	v_fma_f32 v6, 0x3fb8aa3b, v2, -v5
	v_rndne_f32_e32 v10, v5
	v_fmamk_f32 v6, v2, 0x32a5705f, v6
	v_sub_f32_e32 v5, v5, v10
	v_add_f32_e32 v5, v5, v6
	v_cvt_i32_f32_e32 v6, v10
	v_exp_f32_e32 v5, v5
	v_ldexp_f32 v5, v5, v6
	v_cndmask_b32_e32 v5, 0, v5, vcc_lo
	v_cmp_nlt_f32_e32 vcc_lo, 0x42b17218, v2
	v_cndmask_b32_e32 v2, 0x7f800000, v5, vcc_lo
	v_cndmask_b32_e64 v5, 0, v2, s1
	ds_bpermute_b32 v3, v3, v5
	s_waitcnt lgkmcnt(0)
	v_add_f32_e32 v3, v5, v3
	ds_bpermute_b32 v5, v7, v3
	s_waitcnt lgkmcnt(0)
	v_add_f32_e32 v3, v3, v5
	;; [unrolled: 3-line block ×4, first 2 shown]
	v_mov_b32_e32 v5, 0
	ds_bpermute_b32 v4, v4, v3
	s_and_saveexec_b32 s0, s1
	s_cbranch_execz .LBB11_45
; %bb.44:
	s_waitcnt lgkmcnt(0)
	v_add_f32_e32 v3, v3, v4
	v_div_scale_f32 v4, null, v3, v3, 1.0
	v_rcp_f32_e32 v5, v4
	v_fma_f32 v6, -v4, v5, 1.0
	v_fmac_f32_e32 v5, v6, v5
	v_div_scale_f32 v6, vcc_lo, 1.0, v3, 1.0
	v_mul_f32_e32 v7, v6, v5
	v_fma_f32 v8, -v4, v7, v6
	v_fmac_f32_e32 v7, v8, v5
	v_fma_f32 v4, -v4, v7, v6
	v_div_fmas_f32 v4, v4, v5, v7
	v_div_fixup_f32 v3, v4, v3, 1.0
	v_mul_f32_e32 v5, v2, v3
.LBB11_45:
	s_or_b32 exec_lo, exec_lo, s0
	v_cmp_gt_i32_e32 vcc_lo, s9, v0
	s_and_b32 exec_lo, exec_lo, vcc_lo
	s_cbranch_execnz .LBB11_40
	s_branch .LBB11_41
	.section	.rodata,"a",@progbits
	.p2align	6, 0x0
	.amdhsa_kernel _Z13topk_moe_cudaILi1ELb0EEvPKfPfPiS2_iiff15topk_moe_config
		.amdhsa_group_segment_fixed_size 0
		.amdhsa_private_segment_fixed_size 0
		.amdhsa_kernarg_size 312
		.amdhsa_user_sgpr_count 6
		.amdhsa_user_sgpr_private_segment_buffer 1
		.amdhsa_user_sgpr_dispatch_ptr 0
		.amdhsa_user_sgpr_queue_ptr 0
		.amdhsa_user_sgpr_kernarg_segment_ptr 1
		.amdhsa_user_sgpr_dispatch_id 0
		.amdhsa_user_sgpr_flat_scratch_init 0
		.amdhsa_user_sgpr_private_segment_size 0
		.amdhsa_wavefront_size32 1
		.amdhsa_uses_dynamic_stack 0
		.amdhsa_system_sgpr_private_segment_wavefront_offset 0
		.amdhsa_system_sgpr_workgroup_id_x 1
		.amdhsa_system_sgpr_workgroup_id_y 0
		.amdhsa_system_sgpr_workgroup_id_z 0
		.amdhsa_system_sgpr_workgroup_info 0
		.amdhsa_system_vgpr_workitem_id 1
		.amdhsa_next_free_vgpr 18
		.amdhsa_next_free_sgpr 12
		.amdhsa_reserve_vcc 1
		.amdhsa_reserve_flat_scratch 0
		.amdhsa_float_round_mode_32 0
		.amdhsa_float_round_mode_16_64 0
		.amdhsa_float_denorm_mode_32 3
		.amdhsa_float_denorm_mode_16_64 3
		.amdhsa_dx10_clamp 1
		.amdhsa_ieee_mode 1
		.amdhsa_fp16_overflow 0
		.amdhsa_workgroup_processor_mode 1
		.amdhsa_memory_ordered 1
		.amdhsa_forward_progress 1
		.amdhsa_shared_vgpr_count 0
		.amdhsa_exception_fp_ieee_invalid_op 0
		.amdhsa_exception_fp_denorm_src 0
		.amdhsa_exception_fp_ieee_div_zero 0
		.amdhsa_exception_fp_ieee_overflow 0
		.amdhsa_exception_fp_ieee_underflow 0
		.amdhsa_exception_fp_ieee_inexact 0
		.amdhsa_exception_int_div_zero 0
	.end_amdhsa_kernel
	.section	.text._Z13topk_moe_cudaILi1ELb0EEvPKfPfPiS2_iiff15topk_moe_config,"axG",@progbits,_Z13topk_moe_cudaILi1ELb0EEvPKfPfPiS2_iiff15topk_moe_config,comdat
.Lfunc_end11:
	.size	_Z13topk_moe_cudaILi1ELb0EEvPKfPfPiS2_iiff15topk_moe_config, .Lfunc_end11-_Z13topk_moe_cudaILi1ELb0EEvPKfPfPiS2_iiff15topk_moe_config
                                        ; -- End function
	.set _Z13topk_moe_cudaILi1ELb0EEvPKfPfPiS2_iiff15topk_moe_config.num_vgpr, 18
	.set _Z13topk_moe_cudaILi1ELb0EEvPKfPfPiS2_iiff15topk_moe_config.num_agpr, 0
	.set _Z13topk_moe_cudaILi1ELb0EEvPKfPfPiS2_iiff15topk_moe_config.numbered_sgpr, 12
	.set _Z13topk_moe_cudaILi1ELb0EEvPKfPfPiS2_iiff15topk_moe_config.num_named_barrier, 0
	.set _Z13topk_moe_cudaILi1ELb0EEvPKfPfPiS2_iiff15topk_moe_config.private_seg_size, 0
	.set _Z13topk_moe_cudaILi1ELb0EEvPKfPfPiS2_iiff15topk_moe_config.uses_vcc, 1
	.set _Z13topk_moe_cudaILi1ELb0EEvPKfPfPiS2_iiff15topk_moe_config.uses_flat_scratch, 0
	.set _Z13topk_moe_cudaILi1ELb0EEvPKfPfPiS2_iiff15topk_moe_config.has_dyn_sized_stack, 0
	.set _Z13topk_moe_cudaILi1ELb0EEvPKfPfPiS2_iiff15topk_moe_config.has_recursion, 0
	.set _Z13topk_moe_cudaILi1ELb0EEvPKfPfPiS2_iiff15topk_moe_config.has_indirect_call, 0
	.section	.AMDGPU.csdata,"",@progbits
; Kernel info:
; codeLenInByte = 2520
; TotalNumSgprs: 14
; NumVgprs: 18
; ScratchSize: 0
; MemoryBound: 0
; FloatMode: 240
; IeeeMode: 1
; LDSByteSize: 0 bytes/workgroup (compile time only)
; SGPRBlocks: 0
; VGPRBlocks: 2
; NumSGPRsForWavesPerEU: 14
; NumVGPRsForWavesPerEU: 18
; Occupancy: 16
; WaveLimiterHint : 0
; COMPUTE_PGM_RSRC2:SCRATCH_EN: 0
; COMPUTE_PGM_RSRC2:USER_SGPR: 6
; COMPUTE_PGM_RSRC2:TRAP_HANDLER: 0
; COMPUTE_PGM_RSRC2:TGID_X_EN: 1
; COMPUTE_PGM_RSRC2:TGID_Y_EN: 0
; COMPUTE_PGM_RSRC2:TGID_Z_EN: 0
; COMPUTE_PGM_RSRC2:TIDIG_COMP_CNT: 1
	.section	.text._Z13topk_moe_cudaILi2ELb0EEvPKfPfPiS2_iiff15topk_moe_config,"axG",@progbits,_Z13topk_moe_cudaILi2ELb0EEvPKfPfPiS2_iiff15topk_moe_config,comdat
	.protected	_Z13topk_moe_cudaILi2ELb0EEvPKfPfPiS2_iiff15topk_moe_config ; -- Begin function _Z13topk_moe_cudaILi2ELb0EEvPKfPfPiS2_iiff15topk_moe_config
	.globl	_Z13topk_moe_cudaILi2ELb0EEvPKfPfPiS2_iiff15topk_moe_config
	.p2align	8
	.type	_Z13topk_moe_cudaILi2ELb0EEvPKfPfPiS2_iiff15topk_moe_config,@function
_Z13topk_moe_cudaILi2ELb0EEvPKfPfPiS2_iiff15topk_moe_config: ; @_Z13topk_moe_cudaILi2ELb0EEvPKfPfPiS2_iiff15topk_moe_config
; %bb.0:
	s_clause 0x1
	s_load_dword s0, s[4:5], 0x44
	s_load_dwordx4 s[8:11], s[4:5], 0x20
	s_waitcnt lgkmcnt(0)
	s_lshr_b32 s0, s0, 16
	v_mad_u64_u32 v[1:2], null, s6, s0, v[1:2]
	s_mov_b32 s0, exec_lo
	v_cmpx_gt_i32_e64 s8, v1
	s_cbranch_execz .LBB12_41
; %bb.1:
	v_mov_b32_e32 v2, 0
	v_mov_b32_e32 v8, 0xff800000
	v_lshlrev_b32_e32 v4, 2, v0
	s_mov_b32 s7, exec_lo
	s_clause 0x1
	global_load_ushort v5, v2, s[4:5] offset:48
	global_load_sbyte v6, v2, s[4:5] offset:50
	s_clause 0x1
	s_load_dwordx4 s[0:3], s[4:5], 0x0
	s_load_dwordx2 s[4:5], s[4:5], 0x10
	v_lshlrev_b32_e32 v2, 1, v1
	v_ashrrev_i32_e32 v3, 31, v2
	v_lshlrev_b64 v[2:3], 2, v[2:3]
	s_waitcnt vmcnt(1)
	v_readfirstlane_b32 s6, v5
	v_cmpx_gt_u32_e32 2, v0
	s_cbranch_execz .LBB12_3
; %bb.2:
	s_waitcnt lgkmcnt(0)
	v_add_co_u32 v7, vcc_lo, s0, v2
	v_add_co_ci_u32_e64 v8, null, s1, v3, vcc_lo
	v_add_co_u32 v7, vcc_lo, v7, v4
	v_add_co_ci_u32_e64 v8, null, 0, v8, vcc_lo
	global_load_dword v8, v[7:8], off
.LBB12_3:
	s_or_b32 exec_lo, exec_lo, s7
	s_waitcnt vmcnt(0)
	v_and_b32_e32 v6, 1, v6
	s_waitcnt lgkmcnt(0)
	v_cmp_eq_u32_e64 s0, 1, v6
	s_and_b32 vcc_lo, exec_lo, s0
	s_cbranch_vccnz .LBB12_9
; %bb.4:
	v_and_b32_e32 v5, 1, v5
	s_mov_b32 s1, 0
	v_cmp_eq_u32_e32 vcc_lo, 0, v5
	s_cbranch_vccz .LBB12_6
; %bb.5:
	v_mbcnt_lo_u32_b32 v5, -1, 0
	v_max_f32_e32 v7, v8, v8
	v_xor_b32_e32 v6, 16, v5
	v_max_f32_e32 v7, 0xff800000, v7
	v_xor_b32_e32 v10, 8, v5
	v_xor_b32_e32 v11, 4, v5
	;; [unrolled: 1-line block ×3, first 2 shown]
	v_cmp_gt_i32_e32 vcc_lo, 32, v6
	v_xor_b32_e32 v13, 1, v5
	v_cndmask_b32_e32 v6, v5, v6, vcc_lo
	v_cmp_gt_i32_e32 vcc_lo, 32, v10
	v_lshlrev_b32_e32 v6, 2, v6
	v_cndmask_b32_e32 v10, v5, v10, vcc_lo
	v_cmp_gt_i32_e32 vcc_lo, 32, v11
	ds_bpermute_b32 v9, v6, v7
	v_lshlrev_b32_e32 v10, 2, v10
	v_cndmask_b32_e32 v11, v5, v11, vcc_lo
	v_cmp_gt_i32_e32 vcc_lo, 32, v12
	v_lshlrev_b32_e32 v11, 2, v11
	v_cndmask_b32_e32 v12, v5, v12, vcc_lo
	v_cmp_gt_i32_e32 vcc_lo, 32, v13
	v_lshlrev_b32_e32 v12, 2, v12
	v_cndmask_b32_e32 v5, v5, v13, vcc_lo
	v_lshlrev_b32_e32 v5, 2, v5
	s_waitcnt lgkmcnt(0)
	v_max_f32_e32 v9, v9, v9
	v_max_f32_e32 v7, v7, v9
	ds_bpermute_b32 v9, v10, v7
	s_waitcnt lgkmcnt(0)
	v_max_f32_e32 v9, v9, v9
	v_max_f32_e32 v7, v7, v9
	ds_bpermute_b32 v9, v11, v7
	;; [unrolled: 4-line block ×4, first 2 shown]
	s_waitcnt lgkmcnt(0)
	v_max_f32_e32 v9, v9, v9
	v_max_f32_e32 v7, v7, v9
	v_sub_f32_e32 v7, v8, v7
	v_mul_f32_e32 v9, 0x3fb8aa3b, v7
	v_cmp_ngt_f32_e32 vcc_lo, 0xc2ce8ed0, v7
	v_fma_f32 v13, 0x3fb8aa3b, v7, -v9
	v_rndne_f32_e32 v14, v9
	v_fmamk_f32 v13, v7, 0x32a5705f, v13
	v_sub_f32_e32 v9, v9, v14
	v_add_f32_e32 v9, v9, v13
	v_cvt_i32_f32_e32 v13, v14
	v_exp_f32_e32 v9, v9
	v_ldexp_f32 v9, v9, v13
	v_cndmask_b32_e32 v9, 0, v9, vcc_lo
	v_cmp_nlt_f32_e32 vcc_lo, 0x42b17218, v7
	v_cndmask_b32_e32 v7, 0x7f800000, v9, vcc_lo
	ds_bpermute_b32 v6, v6, v7
	s_waitcnt lgkmcnt(0)
	v_add_f32_e32 v6, v7, v6
	ds_bpermute_b32 v9, v10, v6
	s_waitcnt lgkmcnt(0)
	v_add_f32_e32 v6, v6, v9
	;; [unrolled: 3-line block ×5, first 2 shown]
	v_div_scale_f32 v6, null, v5, v5, 1.0
	v_rcp_f32_e32 v9, v6
	v_fma_f32 v10, -v6, v9, 1.0
	v_fmac_f32_e32 v9, v10, v9
	v_div_scale_f32 v10, vcc_lo, 1.0, v5, 1.0
	v_mul_f32_e32 v11, v10, v9
	v_fma_f32 v12, -v6, v11, v10
	v_fmac_f32_e32 v11, v12, v9
	v_fma_f32 v6, -v6, v11, v10
	v_div_fmas_f32 v6, v6, v9, v11
	v_div_fixup_f32 v5, v6, v5, 1.0
	v_mul_f32_e32 v5, v7, v5
	s_andn2_b32 vcc_lo, exec_lo, s1
	s_cbranch_vccz .LBB12_7
	s_branch .LBB12_8
.LBB12_6:
                                        ; implicit-def: $vgpr5
.LBB12_7:
	v_mul_f32_e32 v5, 0xbfb8aa3b, v8
	v_cmp_nlt_f32_e32 vcc_lo, 0x42ce8ed0, v8
	v_rndne_f32_e32 v6, v5
	v_fma_f32 v7, 0xbfb8aa3b, v8, -v5
	v_sub_f32_e32 v5, v5, v6
	v_fmamk_f32 v7, v8, 0xb2a5705f, v7
	v_cvt_i32_f32_e32 v6, v6
	v_add_f32_e32 v5, v5, v7
	v_exp_f32_e32 v5, v5
	v_ldexp_f32 v5, v5, v6
	v_cndmask_b32_e32 v5, 0, v5, vcc_lo
	v_cmp_ngt_f32_e32 vcc_lo, 0xc2b17218, v8
	v_cndmask_b32_e32 v5, 0x7f800000, v5, vcc_lo
	v_add_f32_e32 v5, 1.0, v5
	v_div_scale_f32 v6, null, v5, v5, 1.0
	v_rcp_f32_e32 v7, v6
	v_fma_f32 v8, -v6, v7, 1.0
	v_fmac_f32_e32 v7, v8, v7
	v_div_scale_f32 v8, vcc_lo, 1.0, v5, 1.0
	v_mul_f32_e32 v9, v8, v7
	v_fma_f32 v10, -v6, v9, v8
	v_fmac_f32_e32 v9, v10, v7
	v_fma_f32 v6, -v6, v9, v8
	v_div_fmas_f32 v6, v6, v7, v9
	v_div_fixup_f32 v5, v6, v5, 1.0
.LBB12_8:
	v_mov_b32_e32 v8, v5
.LBB12_9:
	s_lshr_b32 s1, s6, 8
	s_cmp_gt_i32 s9, 0
	s_mov_b32 s7, 0
	s_cbranch_scc1 .LBB12_11
; %bb.10:
	s_bitcmp1_b32 s1, 0
	s_cselect_b32 s6, -1, 0
	s_branch .LBB12_12
.LBB12_11:
	s_mov_b32 s7, -1
                                        ; implicit-def: $sgpr6
.LBB12_12:
	v_mov_b32_e32 v7, 0
	v_mbcnt_lo_u32_b32 v5, -1, 0
	v_mov_b32_e32 v6, 0
	s_andn2_b32 vcc_lo, exec_lo, s7
	s_cbranch_vccnz .LBB12_37
; %bb.13:
	v_add_co_u32 v2, vcc_lo, s4, v2
	v_xor_b32_e32 v6, 16, v5
	v_add_co_ci_u32_e64 v3, null, s5, v3, vcc_lo
	v_cmp_o_f32_e32 vcc_lo, v8, v8
	v_xor_b32_e32 v7, 8, v5
	v_xor_b32_e32 v9, 4, v5
	;; [unrolled: 1-line block ×4, first 2 shown]
	v_cndmask_b32_e32 v8, 0xff7fffff, v8, vcc_lo
	v_cmp_gt_i32_e32 vcc_lo, 32, v6
	s_bitcmp1_b32 s1, 0
	s_mov_b32 s4, 0
	s_cselect_b32 s6, -1, 0
	v_cndmask_b32_e32 v6, v5, v6, vcc_lo
	v_cmp_gt_i32_e32 vcc_lo, 32, v7
	v_cndmask_b32_e32 v7, v5, v7, vcc_lo
	v_cmp_gt_i32_e32 vcc_lo, 32, v9
	;; [unrolled: 2-line block ×3, first 2 shown]
	v_lshlrev_b32_e32 v9, 2, v6
	v_mov_b32_e32 v6, 0
	v_cndmask_b32_e32 v13, v5, v10, vcc_lo
	v_cmp_gt_i32_e32 vcc_lo, 32, v11
	v_lshlrev_b32_e32 v10, 2, v7
	v_mov_b32_e32 v7, 0
	v_cndmask_b32_e32 v14, v5, v11, vcc_lo
	v_lshlrev_b32_e32 v11, 2, v12
	v_lshlrev_b32_e32 v12, 2, v13
	;; [unrolled: 1-line block ×3, first 2 shown]
	s_branch .LBB12_15
.LBB12_14:                              ;   in Loop: Header=BB12_15 Depth=1
	s_or_b32 exec_lo, exec_lo, s1
	s_and_b32 s1, s4, 31
	v_cndmask_b32_e64 v8, v8, 0xff800000, vcc_lo
	v_cmp_eq_u32_e32 vcc_lo, s1, v0
	s_add_i32 s4, s4, 1
	s_cmp_eq_u32 s9, s4
	v_cndmask_b32_e32 v6, v6, v14, vcc_lo
	v_add_co_u32 v2, vcc_lo, v2, 4
	v_add_co_ci_u32_e64 v3, null, 0, v3, vcc_lo
	s_cbranch_scc1 .LBB12_37
.LBB12_15:                              ; =>This Inner Loop Header: Depth=1
	s_waitcnt lgkmcnt(0)
	ds_bpermute_b32 v17, v9, v8
	ds_bpermute_b32 v18, v9, v0
	s_mov_b32 s7, exec_lo
	s_waitcnt lgkmcnt(1)
	v_cmp_lt_f32_e64 s5, v8, v17
	v_cmpx_nlt_f32_e32 v8, v17
	s_cbranch_execz .LBB12_17
; %bb.16:                               ;   in Loop: Header=BB12_15 Depth=1
	v_cmp_eq_f32_e32 vcc_lo, v8, v17
	s_waitcnt lgkmcnt(0)
	v_cmp_lt_i32_e64 s1, v18, v0
	s_andn2_b32 s5, s5, exec_lo
	s_and_b32 s1, vcc_lo, s1
	s_and_b32 s1, s1, exec_lo
	s_or_b32 s5, s5, s1
.LBB12_17:                              ;   in Loop: Header=BB12_15 Depth=1
	s_or_b32 exec_lo, exec_lo, s7
	v_mov_b32_e32 v16, v8
	v_mov_b32_e32 v14, v8
	;; [unrolled: 1-line block ×3, first 2 shown]
	s_and_saveexec_b32 s1, s5
	s_cbranch_execz .LBB12_19
; %bb.18:                               ;   in Loop: Header=BB12_15 Depth=1
	v_mov_b32_e32 v16, v17
	v_mov_b32_e32 v14, v17
	s_waitcnt lgkmcnt(0)
	v_mov_b32_e32 v15, v18
.LBB12_19:                              ;   in Loop: Header=BB12_15 Depth=1
	s_or_b32 exec_lo, exec_lo, s1
	ds_bpermute_b32 v17, v10, v16
	s_waitcnt lgkmcnt(1)
	ds_bpermute_b32 v18, v10, v15
	s_mov_b32 s7, exec_lo
	s_waitcnt lgkmcnt(1)
	v_cmp_lt_f32_e64 s5, v14, v17
	v_cmpx_nlt_f32_e32 v14, v17
	s_cbranch_execz .LBB12_21
; %bb.20:                               ;   in Loop: Header=BB12_15 Depth=1
	v_cmp_eq_f32_e32 vcc_lo, v14, v17
	s_waitcnt lgkmcnt(0)
	v_cmp_lt_i32_e64 s1, v18, v15
	s_andn2_b32 s5, s5, exec_lo
	s_and_b32 s1, vcc_lo, s1
	s_and_b32 s1, s1, exec_lo
	s_or_b32 s5, s5, s1
.LBB12_21:                              ;   in Loop: Header=BB12_15 Depth=1
	s_or_b32 exec_lo, exec_lo, s7
	s_and_saveexec_b32 s1, s5
	s_cbranch_execz .LBB12_23
; %bb.22:                               ;   in Loop: Header=BB12_15 Depth=1
	v_mov_b32_e32 v16, v17
	v_mov_b32_e32 v14, v17
	s_waitcnt lgkmcnt(0)
	v_mov_b32_e32 v15, v18
.LBB12_23:                              ;   in Loop: Header=BB12_15 Depth=1
	s_or_b32 exec_lo, exec_lo, s1
	ds_bpermute_b32 v17, v11, v16
	s_waitcnt lgkmcnt(1)
	ds_bpermute_b32 v18, v11, v15
	s_mov_b32 s7, exec_lo
	s_waitcnt lgkmcnt(1)
	v_cmp_lt_f32_e64 s5, v14, v17
	v_cmpx_nlt_f32_e32 v14, v17
	s_cbranch_execz .LBB12_25
; %bb.24:                               ;   in Loop: Header=BB12_15 Depth=1
	v_cmp_eq_f32_e32 vcc_lo, v14, v17
	s_waitcnt lgkmcnt(0)
	v_cmp_lt_i32_e64 s1, v18, v15
	s_andn2_b32 s5, s5, exec_lo
	s_and_b32 s1, vcc_lo, s1
	s_and_b32 s1, s1, exec_lo
	s_or_b32 s5, s5, s1
.LBB12_25:                              ;   in Loop: Header=BB12_15 Depth=1
	s_or_b32 exec_lo, exec_lo, s7
	;; [unrolled: 27-line block ×3, first 2 shown]
	s_and_saveexec_b32 s1, s5
	s_cbranch_execz .LBB12_31
; %bb.30:                               ;   in Loop: Header=BB12_15 Depth=1
	v_mov_b32_e32 v16, v17
	v_mov_b32_e32 v14, v17
	s_waitcnt lgkmcnt(0)
	v_mov_b32_e32 v15, v18
.LBB12_31:                              ;   in Loop: Header=BB12_15 Depth=1
	s_or_b32 exec_lo, exec_lo, s1
	ds_bpermute_b32 v16, v13, v16
	ds_bpermute_b32 v17, v13, v15
	s_mov_b32 s7, exec_lo
	s_waitcnt lgkmcnt(1)
	v_cmp_lt_f32_e64 s5, v14, v16
	v_cmpx_nlt_f32_e32 v14, v16
	s_cbranch_execz .LBB12_33
; %bb.32:                               ;   in Loop: Header=BB12_15 Depth=1
	v_cmp_eq_f32_e32 vcc_lo, v14, v16
	s_waitcnt lgkmcnt(0)
	v_cmp_lt_i32_e64 s1, v17, v15
	s_andn2_b32 s5, s5, exec_lo
	s_and_b32 s1, vcc_lo, s1
	s_and_b32 s1, s1, exec_lo
	s_or_b32 s5, s5, s1
.LBB12_33:                              ;   in Loop: Header=BB12_15 Depth=1
	s_or_b32 exec_lo, exec_lo, s7
	s_and_saveexec_b32 s1, s5
	s_cbranch_execz .LBB12_35
; %bb.34:                               ;   in Loop: Header=BB12_15 Depth=1
	v_mov_b32_e32 v14, v16
	s_waitcnt lgkmcnt(0)
	v_mov_b32_e32 v15, v17
.LBB12_35:                              ;   in Loop: Header=BB12_15 Depth=1
	s_or_b32 exec_lo, exec_lo, s1
	v_and_b32_e32 v16, 31, v15
	v_cmp_eq_u32_e32 vcc_lo, v16, v0
	s_and_saveexec_b32 s1, vcc_lo
	s_cbranch_execz .LBB12_14
; %bb.36:                               ;   in Loop: Header=BB12_15 Depth=1
	v_add_f32_e32 v16, v7, v14
	global_store_dword v[2:3], v15, off
	v_cndmask_b32_e64 v7, v7, v16, s6
	s_branch .LBB12_14
.LBB12_37:
	s_and_b32 vcc_lo, exec_lo, s6
	s_cbranch_vccnz .LBB12_42
; %bb.38:
	v_cmp_gt_i32_e64 s1, s9, v0
	s_andn2_b32 vcc_lo, exec_lo, s0
	s_cbranch_vccz .LBB12_43
.LBB12_39:
	v_cmp_gt_i32_e32 vcc_lo, s9, v0
	s_and_b32 exec_lo, exec_lo, vcc_lo
	s_cbranch_execz .LBB12_41
.LBB12_40:
	v_mul_lo_u32 v0, v1, s9
	v_mul_f32_e32 v2, s11, v6
	v_ashrrev_i32_e32 v1, 31, v0
	v_lshlrev_b64 v[0:1], 2, v[0:1]
	v_add_co_u32 v0, vcc_lo, s2, v0
	v_add_co_ci_u32_e64 v1, null, s3, v1, vcc_lo
	v_add_co_u32 v0, vcc_lo, v0, v4
	v_add_co_ci_u32_e64 v1, null, 0, v1, vcc_lo
	global_store_dword v[0:1], v2, off
.LBB12_41:
	s_endpgm
.LBB12_42:
	v_xor_b32_e32 v2, 16, v5
	v_xor_b32_e32 v3, 8, v5
	v_cmp_gt_i32_e32 vcc_lo, 32, v2
	v_cndmask_b32_e32 v2, v5, v2, vcc_lo
	v_cmp_gt_i32_e32 vcc_lo, 32, v3
	v_lshlrev_b32_e32 v2, 2, v2
	v_cndmask_b32_e32 v3, v5, v3, vcc_lo
	ds_bpermute_b32 v2, v2, v7
	v_lshlrev_b32_e32 v3, 2, v3
	s_waitcnt lgkmcnt(0)
	v_add_f32_e32 v2, v7, v2
	v_xor_b32_e32 v7, 4, v5
	ds_bpermute_b32 v3, v3, v2
	v_cmp_gt_i32_e32 vcc_lo, 32, v7
	v_cndmask_b32_e32 v7, v5, v7, vcc_lo
	v_lshlrev_b32_e32 v7, 2, v7
	s_waitcnt lgkmcnt(0)
	v_add_f32_e32 v2, v2, v3
	ds_bpermute_b32 v3, v7, v2
	v_xor_b32_e32 v7, 2, v5
	v_cmp_gt_i32_e32 vcc_lo, 32, v7
	v_cndmask_b32_e32 v7, v5, v7, vcc_lo
	v_lshlrev_b32_e32 v7, 2, v7
	s_waitcnt lgkmcnt(0)
	v_add_f32_e32 v2, v2, v3
	ds_bpermute_b32 v3, v7, v2
	v_xor_b32_e32 v7, 1, v5
	v_cmp_gt_i32_e32 vcc_lo, 32, v7
	v_cndmask_b32_e32 v7, v5, v7, vcc_lo
	v_lshlrev_b32_e32 v7, 2, v7
	s_waitcnt lgkmcnt(0)
	v_add_f32_e32 v2, v2, v3
	ds_bpermute_b32 v3, v7, v2
	v_max_f32_e64 v7, s10, s10
	s_waitcnt lgkmcnt(0)
	v_add_f32_e32 v2, v2, v3
	v_max_f32_e32 v2, v2, v7
	v_div_scale_f32 v3, null, v2, v2, 1.0
	v_rcp_f32_e32 v7, v3
	v_fma_f32 v8, -v3, v7, 1.0
	v_fmac_f32_e32 v7, v8, v7
	v_div_scale_f32 v8, vcc_lo, 1.0, v2, 1.0
	v_mul_f32_e32 v9, v8, v7
	v_fma_f32 v10, -v3, v9, v8
	v_fmac_f32_e32 v9, v10, v7
	v_fma_f32 v3, -v3, v9, v8
	v_div_fmas_f32 v3, v3, v7, v9
	v_div_fixup_f32 v2, v3, v2, 1.0
	v_mul_f32_e32 v6, v2, v6
	v_cmp_gt_i32_e64 s1, s9, v0
	s_andn2_b32 vcc_lo, exec_lo, s0
	s_cbranch_vccnz .LBB12_39
.LBB12_43:
	v_xor_b32_e32 v3, 16, v5
	v_max_f32_e32 v2, v6, v6
	v_xor_b32_e32 v8, 8, v5
	v_xor_b32_e32 v9, 4, v5
	;; [unrolled: 1-line block ×3, first 2 shown]
	v_cmp_gt_i32_e32 vcc_lo, 32, v3
	v_max_f32_e32 v2, 0xff800000, v2
	v_xor_b32_e32 v11, 1, v5
	v_cndmask_b32_e32 v3, v5, v3, vcc_lo
	v_cndmask_b32_e64 v2, 0xff800000, v2, s1
	v_cmp_gt_i32_e32 vcc_lo, 32, v8
	v_lshlrev_b32_e32 v3, 2, v3
	v_cndmask_b32_e32 v8, v5, v8, vcc_lo
	v_cmp_gt_i32_e32 vcc_lo, 32, v9
	ds_bpermute_b32 v7, v3, v2
	v_lshlrev_b32_e32 v8, 2, v8
	v_cndmask_b32_e32 v9, v5, v9, vcc_lo
	v_cmp_gt_i32_e32 vcc_lo, 32, v10
	v_lshlrev_b32_e32 v9, 2, v9
	v_cndmask_b32_e32 v10, v5, v10, vcc_lo
	v_cmp_gt_i32_e32 vcc_lo, 32, v11
	v_lshlrev_b32_e32 v10, 2, v10
	v_cndmask_b32_e32 v5, v5, v11, vcc_lo
	v_lshlrev_b32_e32 v5, 2, v5
	s_waitcnt lgkmcnt(0)
	v_max_f32_e32 v7, v7, v7
	v_max_f32_e32 v2, v2, v7
	ds_bpermute_b32 v7, v8, v2
	s_waitcnt lgkmcnt(0)
	v_max_f32_e32 v7, v7, v7
	v_max_f32_e32 v2, v2, v7
	ds_bpermute_b32 v7, v9, v2
	;; [unrolled: 4-line block ×4, first 2 shown]
	s_waitcnt lgkmcnt(0)
	v_max_f32_e32 v7, v7, v7
	v_max_f32_e32 v2, v2, v7
	v_sub_f32_e32 v2, v6, v2
	v_mul_f32_e32 v6, 0x3fb8aa3b, v2
	v_cmp_ngt_f32_e32 vcc_lo, 0xc2ce8ed0, v2
	v_fma_f32 v7, 0x3fb8aa3b, v2, -v6
	v_rndne_f32_e32 v11, v6
	v_fmamk_f32 v7, v2, 0x32a5705f, v7
	v_sub_f32_e32 v6, v6, v11
	v_add_f32_e32 v6, v6, v7
	v_cvt_i32_f32_e32 v7, v11
	v_exp_f32_e32 v6, v6
	v_ldexp_f32 v6, v6, v7
	v_cndmask_b32_e32 v6, 0, v6, vcc_lo
	v_cmp_nlt_f32_e32 vcc_lo, 0x42b17218, v2
	v_cndmask_b32_e32 v2, 0x7f800000, v6, vcc_lo
	v_cndmask_b32_e64 v6, 0, v2, s1
	ds_bpermute_b32 v3, v3, v6
	s_waitcnt lgkmcnt(0)
	v_add_f32_e32 v3, v6, v3
	ds_bpermute_b32 v6, v8, v3
	s_waitcnt lgkmcnt(0)
	v_add_f32_e32 v3, v3, v6
	;; [unrolled: 3-line block ×4, first 2 shown]
	v_mov_b32_e32 v6, 0
	ds_bpermute_b32 v5, v5, v3
	s_and_saveexec_b32 s0, s1
	s_cbranch_execz .LBB12_45
; %bb.44:
	s_waitcnt lgkmcnt(0)
	v_add_f32_e32 v3, v3, v5
	v_div_scale_f32 v5, null, v3, v3, 1.0
	v_rcp_f32_e32 v6, v5
	v_fma_f32 v7, -v5, v6, 1.0
	v_fmac_f32_e32 v6, v7, v6
	v_div_scale_f32 v7, vcc_lo, 1.0, v3, 1.0
	v_mul_f32_e32 v8, v7, v6
	v_fma_f32 v9, -v5, v8, v7
	v_fmac_f32_e32 v8, v9, v6
	v_fma_f32 v5, -v5, v8, v7
	v_div_fmas_f32 v5, v5, v6, v8
	v_div_fixup_f32 v3, v5, v3, 1.0
	v_mul_f32_e32 v6, v2, v3
.LBB12_45:
	s_or_b32 exec_lo, exec_lo, s0
	v_cmp_gt_i32_e32 vcc_lo, s9, v0
	s_and_b32 exec_lo, exec_lo, vcc_lo
	s_cbranch_execnz .LBB12_40
	s_branch .LBB12_41
	.section	.rodata,"a",@progbits
	.p2align	6, 0x0
	.amdhsa_kernel _Z13topk_moe_cudaILi2ELb0EEvPKfPfPiS2_iiff15topk_moe_config
		.amdhsa_group_segment_fixed_size 0
		.amdhsa_private_segment_fixed_size 0
		.amdhsa_kernarg_size 312
		.amdhsa_user_sgpr_count 6
		.amdhsa_user_sgpr_private_segment_buffer 1
		.amdhsa_user_sgpr_dispatch_ptr 0
		.amdhsa_user_sgpr_queue_ptr 0
		.amdhsa_user_sgpr_kernarg_segment_ptr 1
		.amdhsa_user_sgpr_dispatch_id 0
		.amdhsa_user_sgpr_flat_scratch_init 0
		.amdhsa_user_sgpr_private_segment_size 0
		.amdhsa_wavefront_size32 1
		.amdhsa_uses_dynamic_stack 0
		.amdhsa_system_sgpr_private_segment_wavefront_offset 0
		.amdhsa_system_sgpr_workgroup_id_x 1
		.amdhsa_system_sgpr_workgroup_id_y 0
		.amdhsa_system_sgpr_workgroup_id_z 0
		.amdhsa_system_sgpr_workgroup_info 0
		.amdhsa_system_vgpr_workitem_id 1
		.amdhsa_next_free_vgpr 19
		.amdhsa_next_free_sgpr 12
		.amdhsa_reserve_vcc 1
		.amdhsa_reserve_flat_scratch 0
		.amdhsa_float_round_mode_32 0
		.amdhsa_float_round_mode_16_64 0
		.amdhsa_float_denorm_mode_32 3
		.amdhsa_float_denorm_mode_16_64 3
		.amdhsa_dx10_clamp 1
		.amdhsa_ieee_mode 1
		.amdhsa_fp16_overflow 0
		.amdhsa_workgroup_processor_mode 1
		.amdhsa_memory_ordered 1
		.amdhsa_forward_progress 1
		.amdhsa_shared_vgpr_count 0
		.amdhsa_exception_fp_ieee_invalid_op 0
		.amdhsa_exception_fp_denorm_src 0
		.amdhsa_exception_fp_ieee_div_zero 0
		.amdhsa_exception_fp_ieee_overflow 0
		.amdhsa_exception_fp_ieee_underflow 0
		.amdhsa_exception_fp_ieee_inexact 0
		.amdhsa_exception_int_div_zero 0
	.end_amdhsa_kernel
	.section	.text._Z13topk_moe_cudaILi2ELb0EEvPKfPfPiS2_iiff15topk_moe_config,"axG",@progbits,_Z13topk_moe_cudaILi2ELb0EEvPKfPfPiS2_iiff15topk_moe_config,comdat
.Lfunc_end12:
	.size	_Z13topk_moe_cudaILi2ELb0EEvPKfPfPiS2_iiff15topk_moe_config, .Lfunc_end12-_Z13topk_moe_cudaILi2ELb0EEvPKfPfPiS2_iiff15topk_moe_config
                                        ; -- End function
	.set _Z13topk_moe_cudaILi2ELb0EEvPKfPfPiS2_iiff15topk_moe_config.num_vgpr, 19
	.set _Z13topk_moe_cudaILi2ELb0EEvPKfPfPiS2_iiff15topk_moe_config.num_agpr, 0
	.set _Z13topk_moe_cudaILi2ELb0EEvPKfPfPiS2_iiff15topk_moe_config.numbered_sgpr, 12
	.set _Z13topk_moe_cudaILi2ELb0EEvPKfPfPiS2_iiff15topk_moe_config.num_named_barrier, 0
	.set _Z13topk_moe_cudaILi2ELb0EEvPKfPfPiS2_iiff15topk_moe_config.private_seg_size, 0
	.set _Z13topk_moe_cudaILi2ELb0EEvPKfPfPiS2_iiff15topk_moe_config.uses_vcc, 1
	.set _Z13topk_moe_cudaILi2ELb0EEvPKfPfPiS2_iiff15topk_moe_config.uses_flat_scratch, 0
	.set _Z13topk_moe_cudaILi2ELb0EEvPKfPfPiS2_iiff15topk_moe_config.has_dyn_sized_stack, 0
	.set _Z13topk_moe_cudaILi2ELb0EEvPKfPfPiS2_iiff15topk_moe_config.has_recursion, 0
	.set _Z13topk_moe_cudaILi2ELb0EEvPKfPfPiS2_iiff15topk_moe_config.has_indirect_call, 0
	.section	.AMDGPU.csdata,"",@progbits
; Kernel info:
; codeLenInByte = 2540
; TotalNumSgprs: 14
; NumVgprs: 19
; ScratchSize: 0
; MemoryBound: 0
; FloatMode: 240
; IeeeMode: 1
; LDSByteSize: 0 bytes/workgroup (compile time only)
; SGPRBlocks: 0
; VGPRBlocks: 2
; NumSGPRsForWavesPerEU: 14
; NumVGPRsForWavesPerEU: 19
; Occupancy: 16
; WaveLimiterHint : 0
; COMPUTE_PGM_RSRC2:SCRATCH_EN: 0
; COMPUTE_PGM_RSRC2:USER_SGPR: 6
; COMPUTE_PGM_RSRC2:TRAP_HANDLER: 0
; COMPUTE_PGM_RSRC2:TGID_X_EN: 1
; COMPUTE_PGM_RSRC2:TGID_Y_EN: 0
; COMPUTE_PGM_RSRC2:TGID_Z_EN: 0
; COMPUTE_PGM_RSRC2:TIDIG_COMP_CNT: 1
	.section	.text._Z13topk_moe_cudaILi4ELb0EEvPKfPfPiS2_iiff15topk_moe_config,"axG",@progbits,_Z13topk_moe_cudaILi4ELb0EEvPKfPfPiS2_iiff15topk_moe_config,comdat
	.protected	_Z13topk_moe_cudaILi4ELb0EEvPKfPfPiS2_iiff15topk_moe_config ; -- Begin function _Z13topk_moe_cudaILi4ELb0EEvPKfPfPiS2_iiff15topk_moe_config
	.globl	_Z13topk_moe_cudaILi4ELb0EEvPKfPfPiS2_iiff15topk_moe_config
	.p2align	8
	.type	_Z13topk_moe_cudaILi4ELb0EEvPKfPfPiS2_iiff15topk_moe_config,@function
_Z13topk_moe_cudaILi4ELb0EEvPKfPfPiS2_iiff15topk_moe_config: ; @_Z13topk_moe_cudaILi4ELb0EEvPKfPfPiS2_iiff15topk_moe_config
; %bb.0:
	s_clause 0x1
	s_load_dword s0, s[4:5], 0x44
	s_load_dwordx4 s[8:11], s[4:5], 0x20
	s_waitcnt lgkmcnt(0)
	s_lshr_b32 s0, s0, 16
	v_mad_u64_u32 v[1:2], null, s6, s0, v[1:2]
	s_mov_b32 s0, exec_lo
	v_cmpx_gt_i32_e64 s8, v1
	s_cbranch_execz .LBB13_41
; %bb.1:
	v_mov_b32_e32 v2, 0
	v_mov_b32_e32 v8, 0xff800000
	v_lshlrev_b32_e32 v4, 2, v0
	s_mov_b32 s7, exec_lo
	s_clause 0x1
	global_load_ushort v5, v2, s[4:5] offset:48
	global_load_sbyte v6, v2, s[4:5] offset:50
	s_clause 0x1
	s_load_dwordx4 s[0:3], s[4:5], 0x0
	s_load_dwordx2 s[4:5], s[4:5], 0x10
	v_lshlrev_b32_e32 v2, 2, v1
	v_ashrrev_i32_e32 v3, 31, v2
	v_lshlrev_b64 v[2:3], 2, v[2:3]
	s_waitcnt vmcnt(1)
	v_readfirstlane_b32 s6, v5
	v_cmpx_gt_u32_e32 4, v0
	s_cbranch_execz .LBB13_3
; %bb.2:
	s_waitcnt lgkmcnt(0)
	v_add_co_u32 v7, vcc_lo, s0, v2
	v_add_co_ci_u32_e64 v8, null, s1, v3, vcc_lo
	v_add_co_u32 v7, vcc_lo, v7, v4
	v_add_co_ci_u32_e64 v8, null, 0, v8, vcc_lo
	global_load_dword v8, v[7:8], off
.LBB13_3:
	s_or_b32 exec_lo, exec_lo, s7
	s_waitcnt vmcnt(0)
	v_and_b32_e32 v6, 1, v6
	s_waitcnt lgkmcnt(0)
	v_cmp_eq_u32_e64 s0, 1, v6
	s_and_b32 vcc_lo, exec_lo, s0
	s_cbranch_vccnz .LBB13_9
; %bb.4:
	v_and_b32_e32 v5, 1, v5
	s_mov_b32 s1, 0
	v_cmp_eq_u32_e32 vcc_lo, 0, v5
	s_cbranch_vccz .LBB13_6
; %bb.5:
	v_mbcnt_lo_u32_b32 v5, -1, 0
	v_max_f32_e32 v7, v8, v8
	v_xor_b32_e32 v6, 16, v5
	v_max_f32_e32 v7, 0xff800000, v7
	v_xor_b32_e32 v10, 8, v5
	v_xor_b32_e32 v11, 4, v5
	v_xor_b32_e32 v12, 2, v5
	v_cmp_gt_i32_e32 vcc_lo, 32, v6
	v_xor_b32_e32 v13, 1, v5
	v_cndmask_b32_e32 v6, v5, v6, vcc_lo
	v_cmp_gt_i32_e32 vcc_lo, 32, v10
	v_lshlrev_b32_e32 v6, 2, v6
	v_cndmask_b32_e32 v10, v5, v10, vcc_lo
	v_cmp_gt_i32_e32 vcc_lo, 32, v11
	ds_bpermute_b32 v9, v6, v7
	v_lshlrev_b32_e32 v10, 2, v10
	v_cndmask_b32_e32 v11, v5, v11, vcc_lo
	v_cmp_gt_i32_e32 vcc_lo, 32, v12
	v_lshlrev_b32_e32 v11, 2, v11
	v_cndmask_b32_e32 v12, v5, v12, vcc_lo
	v_cmp_gt_i32_e32 vcc_lo, 32, v13
	v_lshlrev_b32_e32 v12, 2, v12
	v_cndmask_b32_e32 v5, v5, v13, vcc_lo
	v_lshlrev_b32_e32 v5, 2, v5
	s_waitcnt lgkmcnt(0)
	v_max_f32_e32 v9, v9, v9
	v_max_f32_e32 v7, v7, v9
	ds_bpermute_b32 v9, v10, v7
	s_waitcnt lgkmcnt(0)
	v_max_f32_e32 v9, v9, v9
	v_max_f32_e32 v7, v7, v9
	ds_bpermute_b32 v9, v11, v7
	;; [unrolled: 4-line block ×4, first 2 shown]
	s_waitcnt lgkmcnt(0)
	v_max_f32_e32 v9, v9, v9
	v_max_f32_e32 v7, v7, v9
	v_sub_f32_e32 v7, v8, v7
	v_mul_f32_e32 v9, 0x3fb8aa3b, v7
	v_cmp_ngt_f32_e32 vcc_lo, 0xc2ce8ed0, v7
	v_fma_f32 v13, 0x3fb8aa3b, v7, -v9
	v_rndne_f32_e32 v14, v9
	v_fmamk_f32 v13, v7, 0x32a5705f, v13
	v_sub_f32_e32 v9, v9, v14
	v_add_f32_e32 v9, v9, v13
	v_cvt_i32_f32_e32 v13, v14
	v_exp_f32_e32 v9, v9
	v_ldexp_f32 v9, v9, v13
	v_cndmask_b32_e32 v9, 0, v9, vcc_lo
	v_cmp_nlt_f32_e32 vcc_lo, 0x42b17218, v7
	v_cndmask_b32_e32 v7, 0x7f800000, v9, vcc_lo
	ds_bpermute_b32 v6, v6, v7
	s_waitcnt lgkmcnt(0)
	v_add_f32_e32 v6, v7, v6
	ds_bpermute_b32 v9, v10, v6
	s_waitcnt lgkmcnt(0)
	v_add_f32_e32 v6, v6, v9
	;; [unrolled: 3-line block ×5, first 2 shown]
	v_div_scale_f32 v6, null, v5, v5, 1.0
	v_rcp_f32_e32 v9, v6
	v_fma_f32 v10, -v6, v9, 1.0
	v_fmac_f32_e32 v9, v10, v9
	v_div_scale_f32 v10, vcc_lo, 1.0, v5, 1.0
	v_mul_f32_e32 v11, v10, v9
	v_fma_f32 v12, -v6, v11, v10
	v_fmac_f32_e32 v11, v12, v9
	v_fma_f32 v6, -v6, v11, v10
	v_div_fmas_f32 v6, v6, v9, v11
	v_div_fixup_f32 v5, v6, v5, 1.0
	v_mul_f32_e32 v5, v7, v5
	s_andn2_b32 vcc_lo, exec_lo, s1
	s_cbranch_vccz .LBB13_7
	s_branch .LBB13_8
.LBB13_6:
                                        ; implicit-def: $vgpr5
.LBB13_7:
	v_mul_f32_e32 v5, 0xbfb8aa3b, v8
	v_cmp_nlt_f32_e32 vcc_lo, 0x42ce8ed0, v8
	v_rndne_f32_e32 v6, v5
	v_fma_f32 v7, 0xbfb8aa3b, v8, -v5
	v_sub_f32_e32 v5, v5, v6
	v_fmamk_f32 v7, v8, 0xb2a5705f, v7
	v_cvt_i32_f32_e32 v6, v6
	v_add_f32_e32 v5, v5, v7
	v_exp_f32_e32 v5, v5
	v_ldexp_f32 v5, v5, v6
	v_cndmask_b32_e32 v5, 0, v5, vcc_lo
	v_cmp_ngt_f32_e32 vcc_lo, 0xc2b17218, v8
	v_cndmask_b32_e32 v5, 0x7f800000, v5, vcc_lo
	v_add_f32_e32 v5, 1.0, v5
	v_div_scale_f32 v6, null, v5, v5, 1.0
	v_rcp_f32_e32 v7, v6
	v_fma_f32 v8, -v6, v7, 1.0
	v_fmac_f32_e32 v7, v8, v7
	v_div_scale_f32 v8, vcc_lo, 1.0, v5, 1.0
	v_mul_f32_e32 v9, v8, v7
	v_fma_f32 v10, -v6, v9, v8
	v_fmac_f32_e32 v9, v10, v7
	v_fma_f32 v6, -v6, v9, v8
	v_div_fmas_f32 v6, v6, v7, v9
	v_div_fixup_f32 v5, v6, v5, 1.0
.LBB13_8:
	v_mov_b32_e32 v8, v5
.LBB13_9:
	s_lshr_b32 s1, s6, 8
	s_cmp_gt_i32 s9, 0
	s_mov_b32 s7, 0
	s_cbranch_scc1 .LBB13_11
; %bb.10:
	s_bitcmp1_b32 s1, 0
	s_cselect_b32 s6, -1, 0
	s_branch .LBB13_12
.LBB13_11:
	s_mov_b32 s7, -1
                                        ; implicit-def: $sgpr6
.LBB13_12:
	v_mov_b32_e32 v7, 0
	v_mbcnt_lo_u32_b32 v5, -1, 0
	v_mov_b32_e32 v6, 0
	s_andn2_b32 vcc_lo, exec_lo, s7
	s_cbranch_vccnz .LBB13_37
; %bb.13:
	v_add_co_u32 v2, vcc_lo, s4, v2
	v_xor_b32_e32 v6, 16, v5
	v_add_co_ci_u32_e64 v3, null, s5, v3, vcc_lo
	v_cmp_o_f32_e32 vcc_lo, v8, v8
	v_xor_b32_e32 v7, 8, v5
	v_xor_b32_e32 v9, 4, v5
	;; [unrolled: 1-line block ×4, first 2 shown]
	v_cndmask_b32_e32 v8, 0xff7fffff, v8, vcc_lo
	v_cmp_gt_i32_e32 vcc_lo, 32, v6
	s_bitcmp1_b32 s1, 0
	s_mov_b32 s4, 0
	s_cselect_b32 s6, -1, 0
	v_cndmask_b32_e32 v6, v5, v6, vcc_lo
	v_cmp_gt_i32_e32 vcc_lo, 32, v7
	v_cndmask_b32_e32 v7, v5, v7, vcc_lo
	v_cmp_gt_i32_e32 vcc_lo, 32, v9
	;; [unrolled: 2-line block ×3, first 2 shown]
	v_lshlrev_b32_e32 v9, 2, v6
	v_mov_b32_e32 v6, 0
	v_cndmask_b32_e32 v13, v5, v10, vcc_lo
	v_cmp_gt_i32_e32 vcc_lo, 32, v11
	v_lshlrev_b32_e32 v10, 2, v7
	v_mov_b32_e32 v7, 0
	v_cndmask_b32_e32 v14, v5, v11, vcc_lo
	v_lshlrev_b32_e32 v11, 2, v12
	v_lshlrev_b32_e32 v12, 2, v13
	;; [unrolled: 1-line block ×3, first 2 shown]
	s_branch .LBB13_15
.LBB13_14:                              ;   in Loop: Header=BB13_15 Depth=1
	s_or_b32 exec_lo, exec_lo, s1
	s_and_b32 s1, s4, 31
	v_cndmask_b32_e64 v8, v8, 0xff800000, vcc_lo
	v_cmp_eq_u32_e32 vcc_lo, s1, v0
	s_add_i32 s4, s4, 1
	s_cmp_eq_u32 s9, s4
	v_cndmask_b32_e32 v6, v6, v14, vcc_lo
	v_add_co_u32 v2, vcc_lo, v2, 4
	v_add_co_ci_u32_e64 v3, null, 0, v3, vcc_lo
	s_cbranch_scc1 .LBB13_37
.LBB13_15:                              ; =>This Inner Loop Header: Depth=1
	s_waitcnt lgkmcnt(0)
	ds_bpermute_b32 v17, v9, v8
	ds_bpermute_b32 v18, v9, v0
	s_mov_b32 s7, exec_lo
	s_waitcnt lgkmcnt(1)
	v_cmp_lt_f32_e64 s5, v8, v17
	v_cmpx_nlt_f32_e32 v8, v17
	s_cbranch_execz .LBB13_17
; %bb.16:                               ;   in Loop: Header=BB13_15 Depth=1
	v_cmp_eq_f32_e32 vcc_lo, v8, v17
	s_waitcnt lgkmcnt(0)
	v_cmp_lt_i32_e64 s1, v18, v0
	s_andn2_b32 s5, s5, exec_lo
	s_and_b32 s1, vcc_lo, s1
	s_and_b32 s1, s1, exec_lo
	s_or_b32 s5, s5, s1
.LBB13_17:                              ;   in Loop: Header=BB13_15 Depth=1
	s_or_b32 exec_lo, exec_lo, s7
	v_mov_b32_e32 v16, v8
	v_mov_b32_e32 v14, v8
	;; [unrolled: 1-line block ×3, first 2 shown]
	s_and_saveexec_b32 s1, s5
	s_cbranch_execz .LBB13_19
; %bb.18:                               ;   in Loop: Header=BB13_15 Depth=1
	v_mov_b32_e32 v16, v17
	v_mov_b32_e32 v14, v17
	s_waitcnt lgkmcnt(0)
	v_mov_b32_e32 v15, v18
.LBB13_19:                              ;   in Loop: Header=BB13_15 Depth=1
	s_or_b32 exec_lo, exec_lo, s1
	ds_bpermute_b32 v17, v10, v16
	s_waitcnt lgkmcnt(1)
	ds_bpermute_b32 v18, v10, v15
	s_mov_b32 s7, exec_lo
	s_waitcnt lgkmcnt(1)
	v_cmp_lt_f32_e64 s5, v14, v17
	v_cmpx_nlt_f32_e32 v14, v17
	s_cbranch_execz .LBB13_21
; %bb.20:                               ;   in Loop: Header=BB13_15 Depth=1
	v_cmp_eq_f32_e32 vcc_lo, v14, v17
	s_waitcnt lgkmcnt(0)
	v_cmp_lt_i32_e64 s1, v18, v15
	s_andn2_b32 s5, s5, exec_lo
	s_and_b32 s1, vcc_lo, s1
	s_and_b32 s1, s1, exec_lo
	s_or_b32 s5, s5, s1
.LBB13_21:                              ;   in Loop: Header=BB13_15 Depth=1
	s_or_b32 exec_lo, exec_lo, s7
	s_and_saveexec_b32 s1, s5
	s_cbranch_execz .LBB13_23
; %bb.22:                               ;   in Loop: Header=BB13_15 Depth=1
	v_mov_b32_e32 v16, v17
	v_mov_b32_e32 v14, v17
	s_waitcnt lgkmcnt(0)
	v_mov_b32_e32 v15, v18
.LBB13_23:                              ;   in Loop: Header=BB13_15 Depth=1
	s_or_b32 exec_lo, exec_lo, s1
	ds_bpermute_b32 v17, v11, v16
	s_waitcnt lgkmcnt(1)
	ds_bpermute_b32 v18, v11, v15
	s_mov_b32 s7, exec_lo
	s_waitcnt lgkmcnt(1)
	v_cmp_lt_f32_e64 s5, v14, v17
	v_cmpx_nlt_f32_e32 v14, v17
	s_cbranch_execz .LBB13_25
; %bb.24:                               ;   in Loop: Header=BB13_15 Depth=1
	v_cmp_eq_f32_e32 vcc_lo, v14, v17
	s_waitcnt lgkmcnt(0)
	v_cmp_lt_i32_e64 s1, v18, v15
	s_andn2_b32 s5, s5, exec_lo
	s_and_b32 s1, vcc_lo, s1
	s_and_b32 s1, s1, exec_lo
	s_or_b32 s5, s5, s1
.LBB13_25:                              ;   in Loop: Header=BB13_15 Depth=1
	s_or_b32 exec_lo, exec_lo, s7
	;; [unrolled: 27-line block ×3, first 2 shown]
	s_and_saveexec_b32 s1, s5
	s_cbranch_execz .LBB13_31
; %bb.30:                               ;   in Loop: Header=BB13_15 Depth=1
	v_mov_b32_e32 v16, v17
	v_mov_b32_e32 v14, v17
	s_waitcnt lgkmcnt(0)
	v_mov_b32_e32 v15, v18
.LBB13_31:                              ;   in Loop: Header=BB13_15 Depth=1
	s_or_b32 exec_lo, exec_lo, s1
	ds_bpermute_b32 v16, v13, v16
	ds_bpermute_b32 v17, v13, v15
	s_mov_b32 s7, exec_lo
	s_waitcnt lgkmcnt(1)
	v_cmp_lt_f32_e64 s5, v14, v16
	v_cmpx_nlt_f32_e32 v14, v16
	s_cbranch_execz .LBB13_33
; %bb.32:                               ;   in Loop: Header=BB13_15 Depth=1
	v_cmp_eq_f32_e32 vcc_lo, v14, v16
	s_waitcnt lgkmcnt(0)
	v_cmp_lt_i32_e64 s1, v17, v15
	s_andn2_b32 s5, s5, exec_lo
	s_and_b32 s1, vcc_lo, s1
	s_and_b32 s1, s1, exec_lo
	s_or_b32 s5, s5, s1
.LBB13_33:                              ;   in Loop: Header=BB13_15 Depth=1
	s_or_b32 exec_lo, exec_lo, s7
	s_and_saveexec_b32 s1, s5
	s_cbranch_execz .LBB13_35
; %bb.34:                               ;   in Loop: Header=BB13_15 Depth=1
	v_mov_b32_e32 v14, v16
	s_waitcnt lgkmcnt(0)
	v_mov_b32_e32 v15, v17
.LBB13_35:                              ;   in Loop: Header=BB13_15 Depth=1
	s_or_b32 exec_lo, exec_lo, s1
	v_and_b32_e32 v16, 31, v15
	v_cmp_eq_u32_e32 vcc_lo, v16, v0
	s_and_saveexec_b32 s1, vcc_lo
	s_cbranch_execz .LBB13_14
; %bb.36:                               ;   in Loop: Header=BB13_15 Depth=1
	v_add_f32_e32 v16, v7, v14
	global_store_dword v[2:3], v15, off
	v_cndmask_b32_e64 v7, v7, v16, s6
	s_branch .LBB13_14
.LBB13_37:
	s_and_b32 vcc_lo, exec_lo, s6
	s_cbranch_vccnz .LBB13_42
; %bb.38:
	v_cmp_gt_i32_e64 s1, s9, v0
	s_andn2_b32 vcc_lo, exec_lo, s0
	s_cbranch_vccz .LBB13_43
.LBB13_39:
	v_cmp_gt_i32_e32 vcc_lo, s9, v0
	s_and_b32 exec_lo, exec_lo, vcc_lo
	s_cbranch_execz .LBB13_41
.LBB13_40:
	v_mul_lo_u32 v0, v1, s9
	v_mul_f32_e32 v2, s11, v6
	v_ashrrev_i32_e32 v1, 31, v0
	v_lshlrev_b64 v[0:1], 2, v[0:1]
	v_add_co_u32 v0, vcc_lo, s2, v0
	v_add_co_ci_u32_e64 v1, null, s3, v1, vcc_lo
	v_add_co_u32 v0, vcc_lo, v0, v4
	v_add_co_ci_u32_e64 v1, null, 0, v1, vcc_lo
	global_store_dword v[0:1], v2, off
.LBB13_41:
	s_endpgm
.LBB13_42:
	v_xor_b32_e32 v2, 16, v5
	v_xor_b32_e32 v3, 8, v5
	v_cmp_gt_i32_e32 vcc_lo, 32, v2
	v_cndmask_b32_e32 v2, v5, v2, vcc_lo
	v_cmp_gt_i32_e32 vcc_lo, 32, v3
	v_lshlrev_b32_e32 v2, 2, v2
	v_cndmask_b32_e32 v3, v5, v3, vcc_lo
	ds_bpermute_b32 v2, v2, v7
	v_lshlrev_b32_e32 v3, 2, v3
	s_waitcnt lgkmcnt(0)
	v_add_f32_e32 v2, v7, v2
	v_xor_b32_e32 v7, 4, v5
	ds_bpermute_b32 v3, v3, v2
	v_cmp_gt_i32_e32 vcc_lo, 32, v7
	v_cndmask_b32_e32 v7, v5, v7, vcc_lo
	v_lshlrev_b32_e32 v7, 2, v7
	s_waitcnt lgkmcnt(0)
	v_add_f32_e32 v2, v2, v3
	ds_bpermute_b32 v3, v7, v2
	v_xor_b32_e32 v7, 2, v5
	v_cmp_gt_i32_e32 vcc_lo, 32, v7
	v_cndmask_b32_e32 v7, v5, v7, vcc_lo
	v_lshlrev_b32_e32 v7, 2, v7
	s_waitcnt lgkmcnt(0)
	v_add_f32_e32 v2, v2, v3
	ds_bpermute_b32 v3, v7, v2
	v_xor_b32_e32 v7, 1, v5
	v_cmp_gt_i32_e32 vcc_lo, 32, v7
	v_cndmask_b32_e32 v7, v5, v7, vcc_lo
	v_lshlrev_b32_e32 v7, 2, v7
	s_waitcnt lgkmcnt(0)
	v_add_f32_e32 v2, v2, v3
	ds_bpermute_b32 v3, v7, v2
	v_max_f32_e64 v7, s10, s10
	s_waitcnt lgkmcnt(0)
	v_add_f32_e32 v2, v2, v3
	v_max_f32_e32 v2, v2, v7
	v_div_scale_f32 v3, null, v2, v2, 1.0
	v_rcp_f32_e32 v7, v3
	v_fma_f32 v8, -v3, v7, 1.0
	v_fmac_f32_e32 v7, v8, v7
	v_div_scale_f32 v8, vcc_lo, 1.0, v2, 1.0
	v_mul_f32_e32 v9, v8, v7
	v_fma_f32 v10, -v3, v9, v8
	v_fmac_f32_e32 v9, v10, v7
	v_fma_f32 v3, -v3, v9, v8
	v_div_fmas_f32 v3, v3, v7, v9
	v_div_fixup_f32 v2, v3, v2, 1.0
	v_mul_f32_e32 v6, v2, v6
	v_cmp_gt_i32_e64 s1, s9, v0
	s_andn2_b32 vcc_lo, exec_lo, s0
	s_cbranch_vccnz .LBB13_39
.LBB13_43:
	v_xor_b32_e32 v3, 16, v5
	v_max_f32_e32 v2, v6, v6
	v_xor_b32_e32 v8, 8, v5
	v_xor_b32_e32 v9, 4, v5
	;; [unrolled: 1-line block ×3, first 2 shown]
	v_cmp_gt_i32_e32 vcc_lo, 32, v3
	v_max_f32_e32 v2, 0xff800000, v2
	v_xor_b32_e32 v11, 1, v5
	v_cndmask_b32_e32 v3, v5, v3, vcc_lo
	v_cndmask_b32_e64 v2, 0xff800000, v2, s1
	v_cmp_gt_i32_e32 vcc_lo, 32, v8
	v_lshlrev_b32_e32 v3, 2, v3
	v_cndmask_b32_e32 v8, v5, v8, vcc_lo
	v_cmp_gt_i32_e32 vcc_lo, 32, v9
	ds_bpermute_b32 v7, v3, v2
	v_lshlrev_b32_e32 v8, 2, v8
	v_cndmask_b32_e32 v9, v5, v9, vcc_lo
	v_cmp_gt_i32_e32 vcc_lo, 32, v10
	v_lshlrev_b32_e32 v9, 2, v9
	v_cndmask_b32_e32 v10, v5, v10, vcc_lo
	v_cmp_gt_i32_e32 vcc_lo, 32, v11
	v_lshlrev_b32_e32 v10, 2, v10
	v_cndmask_b32_e32 v5, v5, v11, vcc_lo
	v_lshlrev_b32_e32 v5, 2, v5
	s_waitcnt lgkmcnt(0)
	v_max_f32_e32 v7, v7, v7
	v_max_f32_e32 v2, v2, v7
	ds_bpermute_b32 v7, v8, v2
	s_waitcnt lgkmcnt(0)
	v_max_f32_e32 v7, v7, v7
	v_max_f32_e32 v2, v2, v7
	ds_bpermute_b32 v7, v9, v2
	;; [unrolled: 4-line block ×4, first 2 shown]
	s_waitcnt lgkmcnt(0)
	v_max_f32_e32 v7, v7, v7
	v_max_f32_e32 v2, v2, v7
	v_sub_f32_e32 v2, v6, v2
	v_mul_f32_e32 v6, 0x3fb8aa3b, v2
	v_cmp_ngt_f32_e32 vcc_lo, 0xc2ce8ed0, v2
	v_fma_f32 v7, 0x3fb8aa3b, v2, -v6
	v_rndne_f32_e32 v11, v6
	v_fmamk_f32 v7, v2, 0x32a5705f, v7
	v_sub_f32_e32 v6, v6, v11
	v_add_f32_e32 v6, v6, v7
	v_cvt_i32_f32_e32 v7, v11
	v_exp_f32_e32 v6, v6
	v_ldexp_f32 v6, v6, v7
	v_cndmask_b32_e32 v6, 0, v6, vcc_lo
	v_cmp_nlt_f32_e32 vcc_lo, 0x42b17218, v2
	v_cndmask_b32_e32 v2, 0x7f800000, v6, vcc_lo
	v_cndmask_b32_e64 v6, 0, v2, s1
	ds_bpermute_b32 v3, v3, v6
	s_waitcnt lgkmcnt(0)
	v_add_f32_e32 v3, v6, v3
	ds_bpermute_b32 v6, v8, v3
	s_waitcnt lgkmcnt(0)
	v_add_f32_e32 v3, v3, v6
	;; [unrolled: 3-line block ×4, first 2 shown]
	v_mov_b32_e32 v6, 0
	ds_bpermute_b32 v5, v5, v3
	s_and_saveexec_b32 s0, s1
	s_cbranch_execz .LBB13_45
; %bb.44:
	s_waitcnt lgkmcnt(0)
	v_add_f32_e32 v3, v3, v5
	v_div_scale_f32 v5, null, v3, v3, 1.0
	v_rcp_f32_e32 v6, v5
	v_fma_f32 v7, -v5, v6, 1.0
	v_fmac_f32_e32 v6, v7, v6
	v_div_scale_f32 v7, vcc_lo, 1.0, v3, 1.0
	v_mul_f32_e32 v8, v7, v6
	v_fma_f32 v9, -v5, v8, v7
	v_fmac_f32_e32 v8, v9, v6
	v_fma_f32 v5, -v5, v8, v7
	v_div_fmas_f32 v5, v5, v6, v8
	v_div_fixup_f32 v3, v5, v3, 1.0
	v_mul_f32_e32 v6, v2, v3
.LBB13_45:
	s_or_b32 exec_lo, exec_lo, s0
	v_cmp_gt_i32_e32 vcc_lo, s9, v0
	s_and_b32 exec_lo, exec_lo, vcc_lo
	s_cbranch_execnz .LBB13_40
	s_branch .LBB13_41
	.section	.rodata,"a",@progbits
	.p2align	6, 0x0
	.amdhsa_kernel _Z13topk_moe_cudaILi4ELb0EEvPKfPfPiS2_iiff15topk_moe_config
		.amdhsa_group_segment_fixed_size 0
		.amdhsa_private_segment_fixed_size 0
		.amdhsa_kernarg_size 312
		.amdhsa_user_sgpr_count 6
		.amdhsa_user_sgpr_private_segment_buffer 1
		.amdhsa_user_sgpr_dispatch_ptr 0
		.amdhsa_user_sgpr_queue_ptr 0
		.amdhsa_user_sgpr_kernarg_segment_ptr 1
		.amdhsa_user_sgpr_dispatch_id 0
		.amdhsa_user_sgpr_flat_scratch_init 0
		.amdhsa_user_sgpr_private_segment_size 0
		.amdhsa_wavefront_size32 1
		.amdhsa_uses_dynamic_stack 0
		.amdhsa_system_sgpr_private_segment_wavefront_offset 0
		.amdhsa_system_sgpr_workgroup_id_x 1
		.amdhsa_system_sgpr_workgroup_id_y 0
		.amdhsa_system_sgpr_workgroup_id_z 0
		.amdhsa_system_sgpr_workgroup_info 0
		.amdhsa_system_vgpr_workitem_id 1
		.amdhsa_next_free_vgpr 19
		.amdhsa_next_free_sgpr 12
		.amdhsa_reserve_vcc 1
		.amdhsa_reserve_flat_scratch 0
		.amdhsa_float_round_mode_32 0
		.amdhsa_float_round_mode_16_64 0
		.amdhsa_float_denorm_mode_32 3
		.amdhsa_float_denorm_mode_16_64 3
		.amdhsa_dx10_clamp 1
		.amdhsa_ieee_mode 1
		.amdhsa_fp16_overflow 0
		.amdhsa_workgroup_processor_mode 1
		.amdhsa_memory_ordered 1
		.amdhsa_forward_progress 1
		.amdhsa_shared_vgpr_count 0
		.amdhsa_exception_fp_ieee_invalid_op 0
		.amdhsa_exception_fp_denorm_src 0
		.amdhsa_exception_fp_ieee_div_zero 0
		.amdhsa_exception_fp_ieee_overflow 0
		.amdhsa_exception_fp_ieee_underflow 0
		.amdhsa_exception_fp_ieee_inexact 0
		.amdhsa_exception_int_div_zero 0
	.end_amdhsa_kernel
	.section	.text._Z13topk_moe_cudaILi4ELb0EEvPKfPfPiS2_iiff15topk_moe_config,"axG",@progbits,_Z13topk_moe_cudaILi4ELb0EEvPKfPfPiS2_iiff15topk_moe_config,comdat
.Lfunc_end13:
	.size	_Z13topk_moe_cudaILi4ELb0EEvPKfPfPiS2_iiff15topk_moe_config, .Lfunc_end13-_Z13topk_moe_cudaILi4ELb0EEvPKfPfPiS2_iiff15topk_moe_config
                                        ; -- End function
	.set _Z13topk_moe_cudaILi4ELb0EEvPKfPfPiS2_iiff15topk_moe_config.num_vgpr, 19
	.set _Z13topk_moe_cudaILi4ELb0EEvPKfPfPiS2_iiff15topk_moe_config.num_agpr, 0
	.set _Z13topk_moe_cudaILi4ELb0EEvPKfPfPiS2_iiff15topk_moe_config.numbered_sgpr, 12
	.set _Z13topk_moe_cudaILi4ELb0EEvPKfPfPiS2_iiff15topk_moe_config.num_named_barrier, 0
	.set _Z13topk_moe_cudaILi4ELb0EEvPKfPfPiS2_iiff15topk_moe_config.private_seg_size, 0
	.set _Z13topk_moe_cudaILi4ELb0EEvPKfPfPiS2_iiff15topk_moe_config.uses_vcc, 1
	.set _Z13topk_moe_cudaILi4ELb0EEvPKfPfPiS2_iiff15topk_moe_config.uses_flat_scratch, 0
	.set _Z13topk_moe_cudaILi4ELb0EEvPKfPfPiS2_iiff15topk_moe_config.has_dyn_sized_stack, 0
	.set _Z13topk_moe_cudaILi4ELb0EEvPKfPfPiS2_iiff15topk_moe_config.has_recursion, 0
	.set _Z13topk_moe_cudaILi4ELb0EEvPKfPfPiS2_iiff15topk_moe_config.has_indirect_call, 0
	.section	.AMDGPU.csdata,"",@progbits
; Kernel info:
; codeLenInByte = 2540
; TotalNumSgprs: 14
; NumVgprs: 19
; ScratchSize: 0
; MemoryBound: 0
; FloatMode: 240
; IeeeMode: 1
; LDSByteSize: 0 bytes/workgroup (compile time only)
; SGPRBlocks: 0
; VGPRBlocks: 2
; NumSGPRsForWavesPerEU: 14
; NumVGPRsForWavesPerEU: 19
; Occupancy: 16
; WaveLimiterHint : 0
; COMPUTE_PGM_RSRC2:SCRATCH_EN: 0
; COMPUTE_PGM_RSRC2:USER_SGPR: 6
; COMPUTE_PGM_RSRC2:TRAP_HANDLER: 0
; COMPUTE_PGM_RSRC2:TGID_X_EN: 1
; COMPUTE_PGM_RSRC2:TGID_Y_EN: 0
; COMPUTE_PGM_RSRC2:TGID_Z_EN: 0
; COMPUTE_PGM_RSRC2:TIDIG_COMP_CNT: 1
	.section	.text._Z13topk_moe_cudaILi8ELb0EEvPKfPfPiS2_iiff15topk_moe_config,"axG",@progbits,_Z13topk_moe_cudaILi8ELb0EEvPKfPfPiS2_iiff15topk_moe_config,comdat
	.protected	_Z13topk_moe_cudaILi8ELb0EEvPKfPfPiS2_iiff15topk_moe_config ; -- Begin function _Z13topk_moe_cudaILi8ELb0EEvPKfPfPiS2_iiff15topk_moe_config
	.globl	_Z13topk_moe_cudaILi8ELb0EEvPKfPfPiS2_iiff15topk_moe_config
	.p2align	8
	.type	_Z13topk_moe_cudaILi8ELb0EEvPKfPfPiS2_iiff15topk_moe_config,@function
_Z13topk_moe_cudaILi8ELb0EEvPKfPfPiS2_iiff15topk_moe_config: ; @_Z13topk_moe_cudaILi8ELb0EEvPKfPfPiS2_iiff15topk_moe_config
; %bb.0:
	s_clause 0x1
	s_load_dword s0, s[4:5], 0x44
	s_load_dwordx4 s[8:11], s[4:5], 0x20
	s_waitcnt lgkmcnt(0)
	s_lshr_b32 s0, s0, 16
	v_mad_u64_u32 v[1:2], null, s6, s0, v[1:2]
	s_mov_b32 s0, exec_lo
	v_cmpx_gt_i32_e64 s8, v1
	s_cbranch_execz .LBB14_41
; %bb.1:
	v_mov_b32_e32 v2, 0
	v_mov_b32_e32 v8, 0xff800000
	v_lshlrev_b32_e32 v4, 2, v0
	s_mov_b32 s7, exec_lo
	s_clause 0x1
	global_load_ushort v5, v2, s[4:5] offset:48
	global_load_sbyte v6, v2, s[4:5] offset:50
	s_clause 0x1
	s_load_dwordx4 s[0:3], s[4:5], 0x0
	s_load_dwordx2 s[4:5], s[4:5], 0x10
	v_lshlrev_b32_e32 v2, 3, v1
	v_ashrrev_i32_e32 v3, 31, v2
	v_lshlrev_b64 v[2:3], 2, v[2:3]
	s_waitcnt vmcnt(1)
	v_readfirstlane_b32 s6, v5
	v_cmpx_gt_u32_e32 8, v0
	s_cbranch_execz .LBB14_3
; %bb.2:
	s_waitcnt lgkmcnt(0)
	v_add_co_u32 v7, vcc_lo, s0, v2
	v_add_co_ci_u32_e64 v8, null, s1, v3, vcc_lo
	v_add_co_u32 v7, vcc_lo, v7, v4
	v_add_co_ci_u32_e64 v8, null, 0, v8, vcc_lo
	global_load_dword v8, v[7:8], off
.LBB14_3:
	s_or_b32 exec_lo, exec_lo, s7
	s_waitcnt vmcnt(0)
	v_and_b32_e32 v6, 1, v6
	s_waitcnt lgkmcnt(0)
	v_cmp_eq_u32_e64 s0, 1, v6
	s_and_b32 vcc_lo, exec_lo, s0
	s_cbranch_vccnz .LBB14_9
; %bb.4:
	v_and_b32_e32 v5, 1, v5
	s_mov_b32 s1, 0
	v_cmp_eq_u32_e32 vcc_lo, 0, v5
	s_cbranch_vccz .LBB14_6
; %bb.5:
	v_mbcnt_lo_u32_b32 v5, -1, 0
	v_max_f32_e32 v7, v8, v8
	v_xor_b32_e32 v6, 16, v5
	v_max_f32_e32 v7, 0xff800000, v7
	v_xor_b32_e32 v10, 8, v5
	v_xor_b32_e32 v11, 4, v5
	;; [unrolled: 1-line block ×3, first 2 shown]
	v_cmp_gt_i32_e32 vcc_lo, 32, v6
	v_xor_b32_e32 v13, 1, v5
	v_cndmask_b32_e32 v6, v5, v6, vcc_lo
	v_cmp_gt_i32_e32 vcc_lo, 32, v10
	v_lshlrev_b32_e32 v6, 2, v6
	v_cndmask_b32_e32 v10, v5, v10, vcc_lo
	v_cmp_gt_i32_e32 vcc_lo, 32, v11
	ds_bpermute_b32 v9, v6, v7
	v_lshlrev_b32_e32 v10, 2, v10
	v_cndmask_b32_e32 v11, v5, v11, vcc_lo
	v_cmp_gt_i32_e32 vcc_lo, 32, v12
	v_lshlrev_b32_e32 v11, 2, v11
	v_cndmask_b32_e32 v12, v5, v12, vcc_lo
	v_cmp_gt_i32_e32 vcc_lo, 32, v13
	v_lshlrev_b32_e32 v12, 2, v12
	v_cndmask_b32_e32 v5, v5, v13, vcc_lo
	v_lshlrev_b32_e32 v5, 2, v5
	s_waitcnt lgkmcnt(0)
	v_max_f32_e32 v9, v9, v9
	v_max_f32_e32 v7, v7, v9
	ds_bpermute_b32 v9, v10, v7
	s_waitcnt lgkmcnt(0)
	v_max_f32_e32 v9, v9, v9
	v_max_f32_e32 v7, v7, v9
	ds_bpermute_b32 v9, v11, v7
	;; [unrolled: 4-line block ×4, first 2 shown]
	s_waitcnt lgkmcnt(0)
	v_max_f32_e32 v9, v9, v9
	v_max_f32_e32 v7, v7, v9
	v_sub_f32_e32 v7, v8, v7
	v_mul_f32_e32 v9, 0x3fb8aa3b, v7
	v_cmp_ngt_f32_e32 vcc_lo, 0xc2ce8ed0, v7
	v_fma_f32 v13, 0x3fb8aa3b, v7, -v9
	v_rndne_f32_e32 v14, v9
	v_fmamk_f32 v13, v7, 0x32a5705f, v13
	v_sub_f32_e32 v9, v9, v14
	v_add_f32_e32 v9, v9, v13
	v_cvt_i32_f32_e32 v13, v14
	v_exp_f32_e32 v9, v9
	v_ldexp_f32 v9, v9, v13
	v_cndmask_b32_e32 v9, 0, v9, vcc_lo
	v_cmp_nlt_f32_e32 vcc_lo, 0x42b17218, v7
	v_cndmask_b32_e32 v7, 0x7f800000, v9, vcc_lo
	ds_bpermute_b32 v6, v6, v7
	s_waitcnt lgkmcnt(0)
	v_add_f32_e32 v6, v7, v6
	ds_bpermute_b32 v9, v10, v6
	s_waitcnt lgkmcnt(0)
	v_add_f32_e32 v6, v6, v9
	;; [unrolled: 3-line block ×5, first 2 shown]
	v_div_scale_f32 v6, null, v5, v5, 1.0
	v_rcp_f32_e32 v9, v6
	v_fma_f32 v10, -v6, v9, 1.0
	v_fmac_f32_e32 v9, v10, v9
	v_div_scale_f32 v10, vcc_lo, 1.0, v5, 1.0
	v_mul_f32_e32 v11, v10, v9
	v_fma_f32 v12, -v6, v11, v10
	v_fmac_f32_e32 v11, v12, v9
	v_fma_f32 v6, -v6, v11, v10
	v_div_fmas_f32 v6, v6, v9, v11
	v_div_fixup_f32 v5, v6, v5, 1.0
	v_mul_f32_e32 v5, v7, v5
	s_andn2_b32 vcc_lo, exec_lo, s1
	s_cbranch_vccz .LBB14_7
	s_branch .LBB14_8
.LBB14_6:
                                        ; implicit-def: $vgpr5
.LBB14_7:
	v_mul_f32_e32 v5, 0xbfb8aa3b, v8
	v_cmp_nlt_f32_e32 vcc_lo, 0x42ce8ed0, v8
	v_rndne_f32_e32 v6, v5
	v_fma_f32 v7, 0xbfb8aa3b, v8, -v5
	v_sub_f32_e32 v5, v5, v6
	v_fmamk_f32 v7, v8, 0xb2a5705f, v7
	v_cvt_i32_f32_e32 v6, v6
	v_add_f32_e32 v5, v5, v7
	v_exp_f32_e32 v5, v5
	v_ldexp_f32 v5, v5, v6
	v_cndmask_b32_e32 v5, 0, v5, vcc_lo
	v_cmp_ngt_f32_e32 vcc_lo, 0xc2b17218, v8
	v_cndmask_b32_e32 v5, 0x7f800000, v5, vcc_lo
	v_add_f32_e32 v5, 1.0, v5
	v_div_scale_f32 v6, null, v5, v5, 1.0
	v_rcp_f32_e32 v7, v6
	v_fma_f32 v8, -v6, v7, 1.0
	v_fmac_f32_e32 v7, v8, v7
	v_div_scale_f32 v8, vcc_lo, 1.0, v5, 1.0
	v_mul_f32_e32 v9, v8, v7
	v_fma_f32 v10, -v6, v9, v8
	v_fmac_f32_e32 v9, v10, v7
	v_fma_f32 v6, -v6, v9, v8
	v_div_fmas_f32 v6, v6, v7, v9
	v_div_fixup_f32 v5, v6, v5, 1.0
.LBB14_8:
	v_mov_b32_e32 v8, v5
.LBB14_9:
	s_lshr_b32 s1, s6, 8
	s_cmp_gt_i32 s9, 0
	s_mov_b32 s7, 0
	s_cbranch_scc1 .LBB14_11
; %bb.10:
	s_bitcmp1_b32 s1, 0
	s_cselect_b32 s6, -1, 0
	s_branch .LBB14_12
.LBB14_11:
	s_mov_b32 s7, -1
                                        ; implicit-def: $sgpr6
.LBB14_12:
	v_mov_b32_e32 v7, 0
	v_mbcnt_lo_u32_b32 v5, -1, 0
	v_mov_b32_e32 v6, 0
	s_andn2_b32 vcc_lo, exec_lo, s7
	s_cbranch_vccnz .LBB14_37
; %bb.13:
	v_add_co_u32 v2, vcc_lo, s4, v2
	v_xor_b32_e32 v6, 16, v5
	v_add_co_ci_u32_e64 v3, null, s5, v3, vcc_lo
	v_cmp_o_f32_e32 vcc_lo, v8, v8
	v_xor_b32_e32 v7, 8, v5
	v_xor_b32_e32 v9, 4, v5
	;; [unrolled: 1-line block ×4, first 2 shown]
	v_cndmask_b32_e32 v8, 0xff7fffff, v8, vcc_lo
	v_cmp_gt_i32_e32 vcc_lo, 32, v6
	s_bitcmp1_b32 s1, 0
	s_mov_b32 s4, 0
	s_cselect_b32 s6, -1, 0
	v_cndmask_b32_e32 v6, v5, v6, vcc_lo
	v_cmp_gt_i32_e32 vcc_lo, 32, v7
	v_cndmask_b32_e32 v7, v5, v7, vcc_lo
	v_cmp_gt_i32_e32 vcc_lo, 32, v9
	;; [unrolled: 2-line block ×3, first 2 shown]
	v_lshlrev_b32_e32 v9, 2, v6
	v_mov_b32_e32 v6, 0
	v_cndmask_b32_e32 v13, v5, v10, vcc_lo
	v_cmp_gt_i32_e32 vcc_lo, 32, v11
	v_lshlrev_b32_e32 v10, 2, v7
	v_mov_b32_e32 v7, 0
	v_cndmask_b32_e32 v14, v5, v11, vcc_lo
	v_lshlrev_b32_e32 v11, 2, v12
	v_lshlrev_b32_e32 v12, 2, v13
	;; [unrolled: 1-line block ×3, first 2 shown]
	s_branch .LBB14_15
.LBB14_14:                              ;   in Loop: Header=BB14_15 Depth=1
	s_or_b32 exec_lo, exec_lo, s1
	s_and_b32 s1, s4, 31
	v_cndmask_b32_e64 v8, v8, 0xff800000, vcc_lo
	v_cmp_eq_u32_e32 vcc_lo, s1, v0
	s_add_i32 s4, s4, 1
	s_cmp_eq_u32 s9, s4
	v_cndmask_b32_e32 v6, v6, v14, vcc_lo
	v_add_co_u32 v2, vcc_lo, v2, 4
	v_add_co_ci_u32_e64 v3, null, 0, v3, vcc_lo
	s_cbranch_scc1 .LBB14_37
.LBB14_15:                              ; =>This Inner Loop Header: Depth=1
	s_waitcnt lgkmcnt(0)
	ds_bpermute_b32 v17, v9, v8
	ds_bpermute_b32 v18, v9, v0
	s_mov_b32 s7, exec_lo
	s_waitcnt lgkmcnt(1)
	v_cmp_lt_f32_e64 s5, v8, v17
	v_cmpx_nlt_f32_e32 v8, v17
	s_cbranch_execz .LBB14_17
; %bb.16:                               ;   in Loop: Header=BB14_15 Depth=1
	v_cmp_eq_f32_e32 vcc_lo, v8, v17
	s_waitcnt lgkmcnt(0)
	v_cmp_lt_i32_e64 s1, v18, v0
	s_andn2_b32 s5, s5, exec_lo
	s_and_b32 s1, vcc_lo, s1
	s_and_b32 s1, s1, exec_lo
	s_or_b32 s5, s5, s1
.LBB14_17:                              ;   in Loop: Header=BB14_15 Depth=1
	s_or_b32 exec_lo, exec_lo, s7
	v_mov_b32_e32 v16, v8
	v_mov_b32_e32 v14, v8
	;; [unrolled: 1-line block ×3, first 2 shown]
	s_and_saveexec_b32 s1, s5
	s_cbranch_execz .LBB14_19
; %bb.18:                               ;   in Loop: Header=BB14_15 Depth=1
	v_mov_b32_e32 v16, v17
	v_mov_b32_e32 v14, v17
	s_waitcnt lgkmcnt(0)
	v_mov_b32_e32 v15, v18
.LBB14_19:                              ;   in Loop: Header=BB14_15 Depth=1
	s_or_b32 exec_lo, exec_lo, s1
	ds_bpermute_b32 v17, v10, v16
	s_waitcnt lgkmcnt(1)
	ds_bpermute_b32 v18, v10, v15
	s_mov_b32 s7, exec_lo
	s_waitcnt lgkmcnt(1)
	v_cmp_lt_f32_e64 s5, v14, v17
	v_cmpx_nlt_f32_e32 v14, v17
	s_cbranch_execz .LBB14_21
; %bb.20:                               ;   in Loop: Header=BB14_15 Depth=1
	v_cmp_eq_f32_e32 vcc_lo, v14, v17
	s_waitcnt lgkmcnt(0)
	v_cmp_lt_i32_e64 s1, v18, v15
	s_andn2_b32 s5, s5, exec_lo
	s_and_b32 s1, vcc_lo, s1
	s_and_b32 s1, s1, exec_lo
	s_or_b32 s5, s5, s1
.LBB14_21:                              ;   in Loop: Header=BB14_15 Depth=1
	s_or_b32 exec_lo, exec_lo, s7
	s_and_saveexec_b32 s1, s5
	s_cbranch_execz .LBB14_23
; %bb.22:                               ;   in Loop: Header=BB14_15 Depth=1
	v_mov_b32_e32 v16, v17
	v_mov_b32_e32 v14, v17
	s_waitcnt lgkmcnt(0)
	v_mov_b32_e32 v15, v18
.LBB14_23:                              ;   in Loop: Header=BB14_15 Depth=1
	s_or_b32 exec_lo, exec_lo, s1
	ds_bpermute_b32 v17, v11, v16
	s_waitcnt lgkmcnt(1)
	ds_bpermute_b32 v18, v11, v15
	s_mov_b32 s7, exec_lo
	s_waitcnt lgkmcnt(1)
	v_cmp_lt_f32_e64 s5, v14, v17
	v_cmpx_nlt_f32_e32 v14, v17
	s_cbranch_execz .LBB14_25
; %bb.24:                               ;   in Loop: Header=BB14_15 Depth=1
	v_cmp_eq_f32_e32 vcc_lo, v14, v17
	s_waitcnt lgkmcnt(0)
	v_cmp_lt_i32_e64 s1, v18, v15
	s_andn2_b32 s5, s5, exec_lo
	s_and_b32 s1, vcc_lo, s1
	s_and_b32 s1, s1, exec_lo
	s_or_b32 s5, s5, s1
.LBB14_25:                              ;   in Loop: Header=BB14_15 Depth=1
	s_or_b32 exec_lo, exec_lo, s7
	;; [unrolled: 27-line block ×3, first 2 shown]
	s_and_saveexec_b32 s1, s5
	s_cbranch_execz .LBB14_31
; %bb.30:                               ;   in Loop: Header=BB14_15 Depth=1
	v_mov_b32_e32 v16, v17
	v_mov_b32_e32 v14, v17
	s_waitcnt lgkmcnt(0)
	v_mov_b32_e32 v15, v18
.LBB14_31:                              ;   in Loop: Header=BB14_15 Depth=1
	s_or_b32 exec_lo, exec_lo, s1
	ds_bpermute_b32 v16, v13, v16
	ds_bpermute_b32 v17, v13, v15
	s_mov_b32 s7, exec_lo
	s_waitcnt lgkmcnt(1)
	v_cmp_lt_f32_e64 s5, v14, v16
	v_cmpx_nlt_f32_e32 v14, v16
	s_cbranch_execz .LBB14_33
; %bb.32:                               ;   in Loop: Header=BB14_15 Depth=1
	v_cmp_eq_f32_e32 vcc_lo, v14, v16
	s_waitcnt lgkmcnt(0)
	v_cmp_lt_i32_e64 s1, v17, v15
	s_andn2_b32 s5, s5, exec_lo
	s_and_b32 s1, vcc_lo, s1
	s_and_b32 s1, s1, exec_lo
	s_or_b32 s5, s5, s1
.LBB14_33:                              ;   in Loop: Header=BB14_15 Depth=1
	s_or_b32 exec_lo, exec_lo, s7
	s_and_saveexec_b32 s1, s5
	s_cbranch_execz .LBB14_35
; %bb.34:                               ;   in Loop: Header=BB14_15 Depth=1
	v_mov_b32_e32 v14, v16
	s_waitcnt lgkmcnt(0)
	v_mov_b32_e32 v15, v17
.LBB14_35:                              ;   in Loop: Header=BB14_15 Depth=1
	s_or_b32 exec_lo, exec_lo, s1
	v_and_b32_e32 v16, 31, v15
	v_cmp_eq_u32_e32 vcc_lo, v16, v0
	s_and_saveexec_b32 s1, vcc_lo
	s_cbranch_execz .LBB14_14
; %bb.36:                               ;   in Loop: Header=BB14_15 Depth=1
	v_add_f32_e32 v16, v7, v14
	global_store_dword v[2:3], v15, off
	v_cndmask_b32_e64 v7, v7, v16, s6
	s_branch .LBB14_14
.LBB14_37:
	s_and_b32 vcc_lo, exec_lo, s6
	s_cbranch_vccnz .LBB14_42
; %bb.38:
	v_cmp_gt_i32_e64 s1, s9, v0
	s_andn2_b32 vcc_lo, exec_lo, s0
	s_cbranch_vccz .LBB14_43
.LBB14_39:
	v_cmp_gt_i32_e32 vcc_lo, s9, v0
	s_and_b32 exec_lo, exec_lo, vcc_lo
	s_cbranch_execz .LBB14_41
.LBB14_40:
	v_mul_lo_u32 v0, v1, s9
	v_mul_f32_e32 v2, s11, v6
	v_ashrrev_i32_e32 v1, 31, v0
	v_lshlrev_b64 v[0:1], 2, v[0:1]
	v_add_co_u32 v0, vcc_lo, s2, v0
	v_add_co_ci_u32_e64 v1, null, s3, v1, vcc_lo
	v_add_co_u32 v0, vcc_lo, v0, v4
	v_add_co_ci_u32_e64 v1, null, 0, v1, vcc_lo
	global_store_dword v[0:1], v2, off
.LBB14_41:
	s_endpgm
.LBB14_42:
	v_xor_b32_e32 v2, 16, v5
	v_xor_b32_e32 v3, 8, v5
	v_cmp_gt_i32_e32 vcc_lo, 32, v2
	v_cndmask_b32_e32 v2, v5, v2, vcc_lo
	v_cmp_gt_i32_e32 vcc_lo, 32, v3
	v_lshlrev_b32_e32 v2, 2, v2
	v_cndmask_b32_e32 v3, v5, v3, vcc_lo
	ds_bpermute_b32 v2, v2, v7
	v_lshlrev_b32_e32 v3, 2, v3
	s_waitcnt lgkmcnt(0)
	v_add_f32_e32 v2, v7, v2
	v_xor_b32_e32 v7, 4, v5
	ds_bpermute_b32 v3, v3, v2
	v_cmp_gt_i32_e32 vcc_lo, 32, v7
	v_cndmask_b32_e32 v7, v5, v7, vcc_lo
	v_lshlrev_b32_e32 v7, 2, v7
	s_waitcnt lgkmcnt(0)
	v_add_f32_e32 v2, v2, v3
	ds_bpermute_b32 v3, v7, v2
	v_xor_b32_e32 v7, 2, v5
	v_cmp_gt_i32_e32 vcc_lo, 32, v7
	v_cndmask_b32_e32 v7, v5, v7, vcc_lo
	v_lshlrev_b32_e32 v7, 2, v7
	s_waitcnt lgkmcnt(0)
	v_add_f32_e32 v2, v2, v3
	ds_bpermute_b32 v3, v7, v2
	v_xor_b32_e32 v7, 1, v5
	v_cmp_gt_i32_e32 vcc_lo, 32, v7
	v_cndmask_b32_e32 v7, v5, v7, vcc_lo
	v_lshlrev_b32_e32 v7, 2, v7
	s_waitcnt lgkmcnt(0)
	v_add_f32_e32 v2, v2, v3
	ds_bpermute_b32 v3, v7, v2
	v_max_f32_e64 v7, s10, s10
	s_waitcnt lgkmcnt(0)
	v_add_f32_e32 v2, v2, v3
	v_max_f32_e32 v2, v2, v7
	v_div_scale_f32 v3, null, v2, v2, 1.0
	v_rcp_f32_e32 v7, v3
	v_fma_f32 v8, -v3, v7, 1.0
	v_fmac_f32_e32 v7, v8, v7
	v_div_scale_f32 v8, vcc_lo, 1.0, v2, 1.0
	v_mul_f32_e32 v9, v8, v7
	v_fma_f32 v10, -v3, v9, v8
	v_fmac_f32_e32 v9, v10, v7
	v_fma_f32 v3, -v3, v9, v8
	v_div_fmas_f32 v3, v3, v7, v9
	v_div_fixup_f32 v2, v3, v2, 1.0
	v_mul_f32_e32 v6, v2, v6
	v_cmp_gt_i32_e64 s1, s9, v0
	s_andn2_b32 vcc_lo, exec_lo, s0
	s_cbranch_vccnz .LBB14_39
.LBB14_43:
	v_xor_b32_e32 v3, 16, v5
	v_max_f32_e32 v2, v6, v6
	v_xor_b32_e32 v8, 8, v5
	v_xor_b32_e32 v9, 4, v5
	;; [unrolled: 1-line block ×3, first 2 shown]
	v_cmp_gt_i32_e32 vcc_lo, 32, v3
	v_max_f32_e32 v2, 0xff800000, v2
	v_xor_b32_e32 v11, 1, v5
	v_cndmask_b32_e32 v3, v5, v3, vcc_lo
	v_cndmask_b32_e64 v2, 0xff800000, v2, s1
	v_cmp_gt_i32_e32 vcc_lo, 32, v8
	v_lshlrev_b32_e32 v3, 2, v3
	v_cndmask_b32_e32 v8, v5, v8, vcc_lo
	v_cmp_gt_i32_e32 vcc_lo, 32, v9
	ds_bpermute_b32 v7, v3, v2
	v_lshlrev_b32_e32 v8, 2, v8
	v_cndmask_b32_e32 v9, v5, v9, vcc_lo
	v_cmp_gt_i32_e32 vcc_lo, 32, v10
	v_lshlrev_b32_e32 v9, 2, v9
	v_cndmask_b32_e32 v10, v5, v10, vcc_lo
	v_cmp_gt_i32_e32 vcc_lo, 32, v11
	v_lshlrev_b32_e32 v10, 2, v10
	v_cndmask_b32_e32 v5, v5, v11, vcc_lo
	v_lshlrev_b32_e32 v5, 2, v5
	s_waitcnt lgkmcnt(0)
	v_max_f32_e32 v7, v7, v7
	v_max_f32_e32 v2, v2, v7
	ds_bpermute_b32 v7, v8, v2
	s_waitcnt lgkmcnt(0)
	v_max_f32_e32 v7, v7, v7
	v_max_f32_e32 v2, v2, v7
	ds_bpermute_b32 v7, v9, v2
	;; [unrolled: 4-line block ×4, first 2 shown]
	s_waitcnt lgkmcnt(0)
	v_max_f32_e32 v7, v7, v7
	v_max_f32_e32 v2, v2, v7
	v_sub_f32_e32 v2, v6, v2
	v_mul_f32_e32 v6, 0x3fb8aa3b, v2
	v_cmp_ngt_f32_e32 vcc_lo, 0xc2ce8ed0, v2
	v_fma_f32 v7, 0x3fb8aa3b, v2, -v6
	v_rndne_f32_e32 v11, v6
	v_fmamk_f32 v7, v2, 0x32a5705f, v7
	v_sub_f32_e32 v6, v6, v11
	v_add_f32_e32 v6, v6, v7
	v_cvt_i32_f32_e32 v7, v11
	v_exp_f32_e32 v6, v6
	v_ldexp_f32 v6, v6, v7
	v_cndmask_b32_e32 v6, 0, v6, vcc_lo
	v_cmp_nlt_f32_e32 vcc_lo, 0x42b17218, v2
	v_cndmask_b32_e32 v2, 0x7f800000, v6, vcc_lo
	v_cndmask_b32_e64 v6, 0, v2, s1
	ds_bpermute_b32 v3, v3, v6
	s_waitcnt lgkmcnt(0)
	v_add_f32_e32 v3, v6, v3
	ds_bpermute_b32 v6, v8, v3
	s_waitcnt lgkmcnt(0)
	v_add_f32_e32 v3, v3, v6
	ds_bpermute_b32 v6, v9, v3
	s_waitcnt lgkmcnt(0)
	v_add_f32_e32 v3, v3, v6
	ds_bpermute_b32 v6, v10, v3
	s_waitcnt lgkmcnt(0)
	v_add_f32_e32 v3, v3, v6
	v_mov_b32_e32 v6, 0
	ds_bpermute_b32 v5, v5, v3
	s_and_saveexec_b32 s0, s1
	s_cbranch_execz .LBB14_45
; %bb.44:
	s_waitcnt lgkmcnt(0)
	v_add_f32_e32 v3, v3, v5
	v_div_scale_f32 v5, null, v3, v3, 1.0
	v_rcp_f32_e32 v6, v5
	v_fma_f32 v7, -v5, v6, 1.0
	v_fmac_f32_e32 v6, v7, v6
	v_div_scale_f32 v7, vcc_lo, 1.0, v3, 1.0
	v_mul_f32_e32 v8, v7, v6
	v_fma_f32 v9, -v5, v8, v7
	v_fmac_f32_e32 v8, v9, v6
	v_fma_f32 v5, -v5, v8, v7
	v_div_fmas_f32 v5, v5, v6, v8
	v_div_fixup_f32 v3, v5, v3, 1.0
	v_mul_f32_e32 v6, v2, v3
.LBB14_45:
	s_or_b32 exec_lo, exec_lo, s0
	v_cmp_gt_i32_e32 vcc_lo, s9, v0
	s_and_b32 exec_lo, exec_lo, vcc_lo
	s_cbranch_execnz .LBB14_40
	s_branch .LBB14_41
	.section	.rodata,"a",@progbits
	.p2align	6, 0x0
	.amdhsa_kernel _Z13topk_moe_cudaILi8ELb0EEvPKfPfPiS2_iiff15topk_moe_config
		.amdhsa_group_segment_fixed_size 0
		.amdhsa_private_segment_fixed_size 0
		.amdhsa_kernarg_size 312
		.amdhsa_user_sgpr_count 6
		.amdhsa_user_sgpr_private_segment_buffer 1
		.amdhsa_user_sgpr_dispatch_ptr 0
		.amdhsa_user_sgpr_queue_ptr 0
		.amdhsa_user_sgpr_kernarg_segment_ptr 1
		.amdhsa_user_sgpr_dispatch_id 0
		.amdhsa_user_sgpr_flat_scratch_init 0
		.amdhsa_user_sgpr_private_segment_size 0
		.amdhsa_wavefront_size32 1
		.amdhsa_uses_dynamic_stack 0
		.amdhsa_system_sgpr_private_segment_wavefront_offset 0
		.amdhsa_system_sgpr_workgroup_id_x 1
		.amdhsa_system_sgpr_workgroup_id_y 0
		.amdhsa_system_sgpr_workgroup_id_z 0
		.amdhsa_system_sgpr_workgroup_info 0
		.amdhsa_system_vgpr_workitem_id 1
		.amdhsa_next_free_vgpr 19
		.amdhsa_next_free_sgpr 12
		.amdhsa_reserve_vcc 1
		.amdhsa_reserve_flat_scratch 0
		.amdhsa_float_round_mode_32 0
		.amdhsa_float_round_mode_16_64 0
		.amdhsa_float_denorm_mode_32 3
		.amdhsa_float_denorm_mode_16_64 3
		.amdhsa_dx10_clamp 1
		.amdhsa_ieee_mode 1
		.amdhsa_fp16_overflow 0
		.amdhsa_workgroup_processor_mode 1
		.amdhsa_memory_ordered 1
		.amdhsa_forward_progress 1
		.amdhsa_shared_vgpr_count 0
		.amdhsa_exception_fp_ieee_invalid_op 0
		.amdhsa_exception_fp_denorm_src 0
		.amdhsa_exception_fp_ieee_div_zero 0
		.amdhsa_exception_fp_ieee_overflow 0
		.amdhsa_exception_fp_ieee_underflow 0
		.amdhsa_exception_fp_ieee_inexact 0
		.amdhsa_exception_int_div_zero 0
	.end_amdhsa_kernel
	.section	.text._Z13topk_moe_cudaILi8ELb0EEvPKfPfPiS2_iiff15topk_moe_config,"axG",@progbits,_Z13topk_moe_cudaILi8ELb0EEvPKfPfPiS2_iiff15topk_moe_config,comdat
.Lfunc_end14:
	.size	_Z13topk_moe_cudaILi8ELb0EEvPKfPfPiS2_iiff15topk_moe_config, .Lfunc_end14-_Z13topk_moe_cudaILi8ELb0EEvPKfPfPiS2_iiff15topk_moe_config
                                        ; -- End function
	.set _Z13topk_moe_cudaILi8ELb0EEvPKfPfPiS2_iiff15topk_moe_config.num_vgpr, 19
	.set _Z13topk_moe_cudaILi8ELb0EEvPKfPfPiS2_iiff15topk_moe_config.num_agpr, 0
	.set _Z13topk_moe_cudaILi8ELb0EEvPKfPfPiS2_iiff15topk_moe_config.numbered_sgpr, 12
	.set _Z13topk_moe_cudaILi8ELb0EEvPKfPfPiS2_iiff15topk_moe_config.num_named_barrier, 0
	.set _Z13topk_moe_cudaILi8ELb0EEvPKfPfPiS2_iiff15topk_moe_config.private_seg_size, 0
	.set _Z13topk_moe_cudaILi8ELb0EEvPKfPfPiS2_iiff15topk_moe_config.uses_vcc, 1
	.set _Z13topk_moe_cudaILi8ELb0EEvPKfPfPiS2_iiff15topk_moe_config.uses_flat_scratch, 0
	.set _Z13topk_moe_cudaILi8ELb0EEvPKfPfPiS2_iiff15topk_moe_config.has_dyn_sized_stack, 0
	.set _Z13topk_moe_cudaILi8ELb0EEvPKfPfPiS2_iiff15topk_moe_config.has_recursion, 0
	.set _Z13topk_moe_cudaILi8ELb0EEvPKfPfPiS2_iiff15topk_moe_config.has_indirect_call, 0
	.section	.AMDGPU.csdata,"",@progbits
; Kernel info:
; codeLenInByte = 2540
; TotalNumSgprs: 14
; NumVgprs: 19
; ScratchSize: 0
; MemoryBound: 0
; FloatMode: 240
; IeeeMode: 1
; LDSByteSize: 0 bytes/workgroup (compile time only)
; SGPRBlocks: 0
; VGPRBlocks: 2
; NumSGPRsForWavesPerEU: 14
; NumVGPRsForWavesPerEU: 19
; Occupancy: 16
; WaveLimiterHint : 0
; COMPUTE_PGM_RSRC2:SCRATCH_EN: 0
; COMPUTE_PGM_RSRC2:USER_SGPR: 6
; COMPUTE_PGM_RSRC2:TRAP_HANDLER: 0
; COMPUTE_PGM_RSRC2:TGID_X_EN: 1
; COMPUTE_PGM_RSRC2:TGID_Y_EN: 0
; COMPUTE_PGM_RSRC2:TGID_Z_EN: 0
; COMPUTE_PGM_RSRC2:TIDIG_COMP_CNT: 1
	.section	.text._Z13topk_moe_cudaILi16ELb0EEvPKfPfPiS2_iiff15topk_moe_config,"axG",@progbits,_Z13topk_moe_cudaILi16ELb0EEvPKfPfPiS2_iiff15topk_moe_config,comdat
	.protected	_Z13topk_moe_cudaILi16ELb0EEvPKfPfPiS2_iiff15topk_moe_config ; -- Begin function _Z13topk_moe_cudaILi16ELb0EEvPKfPfPiS2_iiff15topk_moe_config
	.globl	_Z13topk_moe_cudaILi16ELb0EEvPKfPfPiS2_iiff15topk_moe_config
	.p2align	8
	.type	_Z13topk_moe_cudaILi16ELb0EEvPKfPfPiS2_iiff15topk_moe_config,@function
_Z13topk_moe_cudaILi16ELb0EEvPKfPfPiS2_iiff15topk_moe_config: ; @_Z13topk_moe_cudaILi16ELb0EEvPKfPfPiS2_iiff15topk_moe_config
; %bb.0:
	s_clause 0x1
	s_load_dword s0, s[4:5], 0x44
	s_load_dwordx4 s[8:11], s[4:5], 0x20
	s_waitcnt lgkmcnt(0)
	s_lshr_b32 s0, s0, 16
	v_mad_u64_u32 v[1:2], null, s6, s0, v[1:2]
	s_mov_b32 s0, exec_lo
	v_cmpx_gt_i32_e64 s8, v1
	s_cbranch_execz .LBB15_41
; %bb.1:
	v_mov_b32_e32 v2, 0
	v_mov_b32_e32 v8, 0xff800000
	v_lshlrev_b32_e32 v4, 2, v0
	s_mov_b32 s7, exec_lo
	s_clause 0x1
	global_load_ushort v5, v2, s[4:5] offset:48
	global_load_sbyte v6, v2, s[4:5] offset:50
	s_clause 0x1
	s_load_dwordx4 s[0:3], s[4:5], 0x0
	s_load_dwordx2 s[4:5], s[4:5], 0x10
	v_lshlrev_b32_e32 v2, 4, v1
	v_ashrrev_i32_e32 v3, 31, v2
	v_lshlrev_b64 v[2:3], 2, v[2:3]
	s_waitcnt vmcnt(1)
	v_readfirstlane_b32 s6, v5
	v_cmpx_gt_u32_e32 16, v0
	s_cbranch_execz .LBB15_3
; %bb.2:
	s_waitcnt lgkmcnt(0)
	v_add_co_u32 v7, vcc_lo, s0, v2
	v_add_co_ci_u32_e64 v8, null, s1, v3, vcc_lo
	v_add_co_u32 v7, vcc_lo, v7, v4
	v_add_co_ci_u32_e64 v8, null, 0, v8, vcc_lo
	global_load_dword v8, v[7:8], off
.LBB15_3:
	s_or_b32 exec_lo, exec_lo, s7
	s_waitcnt vmcnt(0)
	v_and_b32_e32 v6, 1, v6
	s_waitcnt lgkmcnt(0)
	v_cmp_eq_u32_e64 s0, 1, v6
	s_and_b32 vcc_lo, exec_lo, s0
	s_cbranch_vccnz .LBB15_9
; %bb.4:
	v_and_b32_e32 v5, 1, v5
	s_mov_b32 s1, 0
	v_cmp_eq_u32_e32 vcc_lo, 0, v5
	s_cbranch_vccz .LBB15_6
; %bb.5:
	v_mbcnt_lo_u32_b32 v5, -1, 0
	v_max_f32_e32 v7, v8, v8
	v_xor_b32_e32 v6, 16, v5
	v_max_f32_e32 v7, 0xff800000, v7
	v_xor_b32_e32 v10, 8, v5
	v_xor_b32_e32 v11, 4, v5
	;; [unrolled: 1-line block ×3, first 2 shown]
	v_cmp_gt_i32_e32 vcc_lo, 32, v6
	v_xor_b32_e32 v13, 1, v5
	v_cndmask_b32_e32 v6, v5, v6, vcc_lo
	v_cmp_gt_i32_e32 vcc_lo, 32, v10
	v_lshlrev_b32_e32 v6, 2, v6
	v_cndmask_b32_e32 v10, v5, v10, vcc_lo
	v_cmp_gt_i32_e32 vcc_lo, 32, v11
	ds_bpermute_b32 v9, v6, v7
	v_lshlrev_b32_e32 v10, 2, v10
	v_cndmask_b32_e32 v11, v5, v11, vcc_lo
	v_cmp_gt_i32_e32 vcc_lo, 32, v12
	v_lshlrev_b32_e32 v11, 2, v11
	v_cndmask_b32_e32 v12, v5, v12, vcc_lo
	v_cmp_gt_i32_e32 vcc_lo, 32, v13
	v_lshlrev_b32_e32 v12, 2, v12
	v_cndmask_b32_e32 v5, v5, v13, vcc_lo
	v_lshlrev_b32_e32 v5, 2, v5
	s_waitcnt lgkmcnt(0)
	v_max_f32_e32 v9, v9, v9
	v_max_f32_e32 v7, v7, v9
	ds_bpermute_b32 v9, v10, v7
	s_waitcnt lgkmcnt(0)
	v_max_f32_e32 v9, v9, v9
	v_max_f32_e32 v7, v7, v9
	ds_bpermute_b32 v9, v11, v7
	;; [unrolled: 4-line block ×4, first 2 shown]
	s_waitcnt lgkmcnt(0)
	v_max_f32_e32 v9, v9, v9
	v_max_f32_e32 v7, v7, v9
	v_sub_f32_e32 v7, v8, v7
	v_mul_f32_e32 v9, 0x3fb8aa3b, v7
	v_cmp_ngt_f32_e32 vcc_lo, 0xc2ce8ed0, v7
	v_fma_f32 v13, 0x3fb8aa3b, v7, -v9
	v_rndne_f32_e32 v14, v9
	v_fmamk_f32 v13, v7, 0x32a5705f, v13
	v_sub_f32_e32 v9, v9, v14
	v_add_f32_e32 v9, v9, v13
	v_cvt_i32_f32_e32 v13, v14
	v_exp_f32_e32 v9, v9
	v_ldexp_f32 v9, v9, v13
	v_cndmask_b32_e32 v9, 0, v9, vcc_lo
	v_cmp_nlt_f32_e32 vcc_lo, 0x42b17218, v7
	v_cndmask_b32_e32 v7, 0x7f800000, v9, vcc_lo
	ds_bpermute_b32 v6, v6, v7
	s_waitcnt lgkmcnt(0)
	v_add_f32_e32 v6, v7, v6
	ds_bpermute_b32 v9, v10, v6
	s_waitcnt lgkmcnt(0)
	v_add_f32_e32 v6, v6, v9
	;; [unrolled: 3-line block ×5, first 2 shown]
	v_div_scale_f32 v6, null, v5, v5, 1.0
	v_rcp_f32_e32 v9, v6
	v_fma_f32 v10, -v6, v9, 1.0
	v_fmac_f32_e32 v9, v10, v9
	v_div_scale_f32 v10, vcc_lo, 1.0, v5, 1.0
	v_mul_f32_e32 v11, v10, v9
	v_fma_f32 v12, -v6, v11, v10
	v_fmac_f32_e32 v11, v12, v9
	v_fma_f32 v6, -v6, v11, v10
	v_div_fmas_f32 v6, v6, v9, v11
	v_div_fixup_f32 v5, v6, v5, 1.0
	v_mul_f32_e32 v5, v7, v5
	s_andn2_b32 vcc_lo, exec_lo, s1
	s_cbranch_vccz .LBB15_7
	s_branch .LBB15_8
.LBB15_6:
                                        ; implicit-def: $vgpr5
.LBB15_7:
	v_mul_f32_e32 v5, 0xbfb8aa3b, v8
	v_cmp_nlt_f32_e32 vcc_lo, 0x42ce8ed0, v8
	v_rndne_f32_e32 v6, v5
	v_fma_f32 v7, 0xbfb8aa3b, v8, -v5
	v_sub_f32_e32 v5, v5, v6
	v_fmamk_f32 v7, v8, 0xb2a5705f, v7
	v_cvt_i32_f32_e32 v6, v6
	v_add_f32_e32 v5, v5, v7
	v_exp_f32_e32 v5, v5
	v_ldexp_f32 v5, v5, v6
	v_cndmask_b32_e32 v5, 0, v5, vcc_lo
	v_cmp_ngt_f32_e32 vcc_lo, 0xc2b17218, v8
	v_cndmask_b32_e32 v5, 0x7f800000, v5, vcc_lo
	v_add_f32_e32 v5, 1.0, v5
	v_div_scale_f32 v6, null, v5, v5, 1.0
	v_rcp_f32_e32 v7, v6
	v_fma_f32 v8, -v6, v7, 1.0
	v_fmac_f32_e32 v7, v8, v7
	v_div_scale_f32 v8, vcc_lo, 1.0, v5, 1.0
	v_mul_f32_e32 v9, v8, v7
	v_fma_f32 v10, -v6, v9, v8
	v_fmac_f32_e32 v9, v10, v7
	v_fma_f32 v6, -v6, v9, v8
	v_div_fmas_f32 v6, v6, v7, v9
	v_div_fixup_f32 v5, v6, v5, 1.0
.LBB15_8:
	v_mov_b32_e32 v8, v5
.LBB15_9:
	s_lshr_b32 s1, s6, 8
	s_cmp_gt_i32 s9, 0
	s_mov_b32 s7, 0
	s_cbranch_scc1 .LBB15_11
; %bb.10:
	s_bitcmp1_b32 s1, 0
	s_cselect_b32 s6, -1, 0
	s_branch .LBB15_12
.LBB15_11:
	s_mov_b32 s7, -1
                                        ; implicit-def: $sgpr6
.LBB15_12:
	v_mov_b32_e32 v7, 0
	v_mbcnt_lo_u32_b32 v5, -1, 0
	v_mov_b32_e32 v6, 0
	s_andn2_b32 vcc_lo, exec_lo, s7
	s_cbranch_vccnz .LBB15_37
; %bb.13:
	v_add_co_u32 v2, vcc_lo, s4, v2
	v_xor_b32_e32 v6, 16, v5
	v_add_co_ci_u32_e64 v3, null, s5, v3, vcc_lo
	v_cmp_o_f32_e32 vcc_lo, v8, v8
	v_xor_b32_e32 v7, 8, v5
	v_xor_b32_e32 v9, 4, v5
	;; [unrolled: 1-line block ×4, first 2 shown]
	v_cndmask_b32_e32 v8, 0xff7fffff, v8, vcc_lo
	v_cmp_gt_i32_e32 vcc_lo, 32, v6
	s_bitcmp1_b32 s1, 0
	s_mov_b32 s4, 0
	s_cselect_b32 s6, -1, 0
	v_cndmask_b32_e32 v6, v5, v6, vcc_lo
	v_cmp_gt_i32_e32 vcc_lo, 32, v7
	v_cndmask_b32_e32 v7, v5, v7, vcc_lo
	v_cmp_gt_i32_e32 vcc_lo, 32, v9
	;; [unrolled: 2-line block ×3, first 2 shown]
	v_lshlrev_b32_e32 v9, 2, v6
	v_mov_b32_e32 v6, 0
	v_cndmask_b32_e32 v13, v5, v10, vcc_lo
	v_cmp_gt_i32_e32 vcc_lo, 32, v11
	v_lshlrev_b32_e32 v10, 2, v7
	v_mov_b32_e32 v7, 0
	v_cndmask_b32_e32 v14, v5, v11, vcc_lo
	v_lshlrev_b32_e32 v11, 2, v12
	v_lshlrev_b32_e32 v12, 2, v13
	;; [unrolled: 1-line block ×3, first 2 shown]
	s_branch .LBB15_15
.LBB15_14:                              ;   in Loop: Header=BB15_15 Depth=1
	s_or_b32 exec_lo, exec_lo, s1
	s_and_b32 s1, s4, 31
	v_cndmask_b32_e64 v8, v8, 0xff800000, vcc_lo
	v_cmp_eq_u32_e32 vcc_lo, s1, v0
	s_add_i32 s4, s4, 1
	s_cmp_eq_u32 s9, s4
	v_cndmask_b32_e32 v6, v6, v14, vcc_lo
	v_add_co_u32 v2, vcc_lo, v2, 4
	v_add_co_ci_u32_e64 v3, null, 0, v3, vcc_lo
	s_cbranch_scc1 .LBB15_37
.LBB15_15:                              ; =>This Inner Loop Header: Depth=1
	s_waitcnt lgkmcnt(0)
	ds_bpermute_b32 v17, v9, v8
	ds_bpermute_b32 v18, v9, v0
	s_mov_b32 s7, exec_lo
	s_waitcnt lgkmcnt(1)
	v_cmp_lt_f32_e64 s5, v8, v17
	v_cmpx_nlt_f32_e32 v8, v17
	s_cbranch_execz .LBB15_17
; %bb.16:                               ;   in Loop: Header=BB15_15 Depth=1
	v_cmp_eq_f32_e32 vcc_lo, v8, v17
	s_waitcnt lgkmcnt(0)
	v_cmp_lt_i32_e64 s1, v18, v0
	s_andn2_b32 s5, s5, exec_lo
	s_and_b32 s1, vcc_lo, s1
	s_and_b32 s1, s1, exec_lo
	s_or_b32 s5, s5, s1
.LBB15_17:                              ;   in Loop: Header=BB15_15 Depth=1
	s_or_b32 exec_lo, exec_lo, s7
	v_mov_b32_e32 v16, v8
	v_mov_b32_e32 v14, v8
	;; [unrolled: 1-line block ×3, first 2 shown]
	s_and_saveexec_b32 s1, s5
	s_cbranch_execz .LBB15_19
; %bb.18:                               ;   in Loop: Header=BB15_15 Depth=1
	v_mov_b32_e32 v16, v17
	v_mov_b32_e32 v14, v17
	s_waitcnt lgkmcnt(0)
	v_mov_b32_e32 v15, v18
.LBB15_19:                              ;   in Loop: Header=BB15_15 Depth=1
	s_or_b32 exec_lo, exec_lo, s1
	ds_bpermute_b32 v17, v10, v16
	s_waitcnt lgkmcnt(1)
	ds_bpermute_b32 v18, v10, v15
	s_mov_b32 s7, exec_lo
	s_waitcnt lgkmcnt(1)
	v_cmp_lt_f32_e64 s5, v14, v17
	v_cmpx_nlt_f32_e32 v14, v17
	s_cbranch_execz .LBB15_21
; %bb.20:                               ;   in Loop: Header=BB15_15 Depth=1
	v_cmp_eq_f32_e32 vcc_lo, v14, v17
	s_waitcnt lgkmcnt(0)
	v_cmp_lt_i32_e64 s1, v18, v15
	s_andn2_b32 s5, s5, exec_lo
	s_and_b32 s1, vcc_lo, s1
	s_and_b32 s1, s1, exec_lo
	s_or_b32 s5, s5, s1
.LBB15_21:                              ;   in Loop: Header=BB15_15 Depth=1
	s_or_b32 exec_lo, exec_lo, s7
	s_and_saveexec_b32 s1, s5
	s_cbranch_execz .LBB15_23
; %bb.22:                               ;   in Loop: Header=BB15_15 Depth=1
	v_mov_b32_e32 v16, v17
	v_mov_b32_e32 v14, v17
	s_waitcnt lgkmcnt(0)
	v_mov_b32_e32 v15, v18
.LBB15_23:                              ;   in Loop: Header=BB15_15 Depth=1
	s_or_b32 exec_lo, exec_lo, s1
	ds_bpermute_b32 v17, v11, v16
	s_waitcnt lgkmcnt(1)
	ds_bpermute_b32 v18, v11, v15
	s_mov_b32 s7, exec_lo
	s_waitcnt lgkmcnt(1)
	v_cmp_lt_f32_e64 s5, v14, v17
	v_cmpx_nlt_f32_e32 v14, v17
	s_cbranch_execz .LBB15_25
; %bb.24:                               ;   in Loop: Header=BB15_15 Depth=1
	v_cmp_eq_f32_e32 vcc_lo, v14, v17
	s_waitcnt lgkmcnt(0)
	v_cmp_lt_i32_e64 s1, v18, v15
	s_andn2_b32 s5, s5, exec_lo
	s_and_b32 s1, vcc_lo, s1
	s_and_b32 s1, s1, exec_lo
	s_or_b32 s5, s5, s1
.LBB15_25:                              ;   in Loop: Header=BB15_15 Depth=1
	s_or_b32 exec_lo, exec_lo, s7
	;; [unrolled: 27-line block ×3, first 2 shown]
	s_and_saveexec_b32 s1, s5
	s_cbranch_execz .LBB15_31
; %bb.30:                               ;   in Loop: Header=BB15_15 Depth=1
	v_mov_b32_e32 v16, v17
	v_mov_b32_e32 v14, v17
	s_waitcnt lgkmcnt(0)
	v_mov_b32_e32 v15, v18
.LBB15_31:                              ;   in Loop: Header=BB15_15 Depth=1
	s_or_b32 exec_lo, exec_lo, s1
	ds_bpermute_b32 v16, v13, v16
	ds_bpermute_b32 v17, v13, v15
	s_mov_b32 s7, exec_lo
	s_waitcnt lgkmcnt(1)
	v_cmp_lt_f32_e64 s5, v14, v16
	v_cmpx_nlt_f32_e32 v14, v16
	s_cbranch_execz .LBB15_33
; %bb.32:                               ;   in Loop: Header=BB15_15 Depth=1
	v_cmp_eq_f32_e32 vcc_lo, v14, v16
	s_waitcnt lgkmcnt(0)
	v_cmp_lt_i32_e64 s1, v17, v15
	s_andn2_b32 s5, s5, exec_lo
	s_and_b32 s1, vcc_lo, s1
	s_and_b32 s1, s1, exec_lo
	s_or_b32 s5, s5, s1
.LBB15_33:                              ;   in Loop: Header=BB15_15 Depth=1
	s_or_b32 exec_lo, exec_lo, s7
	s_and_saveexec_b32 s1, s5
	s_cbranch_execz .LBB15_35
; %bb.34:                               ;   in Loop: Header=BB15_15 Depth=1
	v_mov_b32_e32 v14, v16
	s_waitcnt lgkmcnt(0)
	v_mov_b32_e32 v15, v17
.LBB15_35:                              ;   in Loop: Header=BB15_15 Depth=1
	s_or_b32 exec_lo, exec_lo, s1
	v_and_b32_e32 v16, 31, v15
	v_cmp_eq_u32_e32 vcc_lo, v16, v0
	s_and_saveexec_b32 s1, vcc_lo
	s_cbranch_execz .LBB15_14
; %bb.36:                               ;   in Loop: Header=BB15_15 Depth=1
	v_add_f32_e32 v16, v7, v14
	global_store_dword v[2:3], v15, off
	v_cndmask_b32_e64 v7, v7, v16, s6
	s_branch .LBB15_14
.LBB15_37:
	s_and_b32 vcc_lo, exec_lo, s6
	s_cbranch_vccnz .LBB15_42
; %bb.38:
	v_cmp_gt_i32_e64 s1, s9, v0
	s_andn2_b32 vcc_lo, exec_lo, s0
	s_cbranch_vccz .LBB15_43
.LBB15_39:
	v_cmp_gt_i32_e32 vcc_lo, s9, v0
	s_and_b32 exec_lo, exec_lo, vcc_lo
	s_cbranch_execz .LBB15_41
.LBB15_40:
	v_mul_lo_u32 v0, v1, s9
	v_mul_f32_e32 v2, s11, v6
	v_ashrrev_i32_e32 v1, 31, v0
	v_lshlrev_b64 v[0:1], 2, v[0:1]
	v_add_co_u32 v0, vcc_lo, s2, v0
	v_add_co_ci_u32_e64 v1, null, s3, v1, vcc_lo
	v_add_co_u32 v0, vcc_lo, v0, v4
	v_add_co_ci_u32_e64 v1, null, 0, v1, vcc_lo
	global_store_dword v[0:1], v2, off
.LBB15_41:
	s_endpgm
.LBB15_42:
	v_xor_b32_e32 v2, 16, v5
	v_xor_b32_e32 v3, 8, v5
	v_cmp_gt_i32_e32 vcc_lo, 32, v2
	v_cndmask_b32_e32 v2, v5, v2, vcc_lo
	v_cmp_gt_i32_e32 vcc_lo, 32, v3
	v_lshlrev_b32_e32 v2, 2, v2
	v_cndmask_b32_e32 v3, v5, v3, vcc_lo
	ds_bpermute_b32 v2, v2, v7
	v_lshlrev_b32_e32 v3, 2, v3
	s_waitcnt lgkmcnt(0)
	v_add_f32_e32 v2, v7, v2
	v_xor_b32_e32 v7, 4, v5
	ds_bpermute_b32 v3, v3, v2
	v_cmp_gt_i32_e32 vcc_lo, 32, v7
	v_cndmask_b32_e32 v7, v5, v7, vcc_lo
	v_lshlrev_b32_e32 v7, 2, v7
	s_waitcnt lgkmcnt(0)
	v_add_f32_e32 v2, v2, v3
	ds_bpermute_b32 v3, v7, v2
	v_xor_b32_e32 v7, 2, v5
	v_cmp_gt_i32_e32 vcc_lo, 32, v7
	v_cndmask_b32_e32 v7, v5, v7, vcc_lo
	v_lshlrev_b32_e32 v7, 2, v7
	s_waitcnt lgkmcnt(0)
	v_add_f32_e32 v2, v2, v3
	ds_bpermute_b32 v3, v7, v2
	v_xor_b32_e32 v7, 1, v5
	v_cmp_gt_i32_e32 vcc_lo, 32, v7
	v_cndmask_b32_e32 v7, v5, v7, vcc_lo
	v_lshlrev_b32_e32 v7, 2, v7
	s_waitcnt lgkmcnt(0)
	v_add_f32_e32 v2, v2, v3
	ds_bpermute_b32 v3, v7, v2
	v_max_f32_e64 v7, s10, s10
	s_waitcnt lgkmcnt(0)
	v_add_f32_e32 v2, v2, v3
	v_max_f32_e32 v2, v2, v7
	v_div_scale_f32 v3, null, v2, v2, 1.0
	v_rcp_f32_e32 v7, v3
	v_fma_f32 v8, -v3, v7, 1.0
	v_fmac_f32_e32 v7, v8, v7
	v_div_scale_f32 v8, vcc_lo, 1.0, v2, 1.0
	v_mul_f32_e32 v9, v8, v7
	v_fma_f32 v10, -v3, v9, v8
	v_fmac_f32_e32 v9, v10, v7
	v_fma_f32 v3, -v3, v9, v8
	v_div_fmas_f32 v3, v3, v7, v9
	v_div_fixup_f32 v2, v3, v2, 1.0
	v_mul_f32_e32 v6, v2, v6
	v_cmp_gt_i32_e64 s1, s9, v0
	s_andn2_b32 vcc_lo, exec_lo, s0
	s_cbranch_vccnz .LBB15_39
.LBB15_43:
	v_xor_b32_e32 v3, 16, v5
	v_max_f32_e32 v2, v6, v6
	v_xor_b32_e32 v8, 8, v5
	v_xor_b32_e32 v9, 4, v5
	v_xor_b32_e32 v10, 2, v5
	v_cmp_gt_i32_e32 vcc_lo, 32, v3
	v_max_f32_e32 v2, 0xff800000, v2
	v_xor_b32_e32 v11, 1, v5
	v_cndmask_b32_e32 v3, v5, v3, vcc_lo
	v_cndmask_b32_e64 v2, 0xff800000, v2, s1
	v_cmp_gt_i32_e32 vcc_lo, 32, v8
	v_lshlrev_b32_e32 v3, 2, v3
	v_cndmask_b32_e32 v8, v5, v8, vcc_lo
	v_cmp_gt_i32_e32 vcc_lo, 32, v9
	ds_bpermute_b32 v7, v3, v2
	v_lshlrev_b32_e32 v8, 2, v8
	v_cndmask_b32_e32 v9, v5, v9, vcc_lo
	v_cmp_gt_i32_e32 vcc_lo, 32, v10
	v_lshlrev_b32_e32 v9, 2, v9
	v_cndmask_b32_e32 v10, v5, v10, vcc_lo
	v_cmp_gt_i32_e32 vcc_lo, 32, v11
	v_lshlrev_b32_e32 v10, 2, v10
	v_cndmask_b32_e32 v5, v5, v11, vcc_lo
	v_lshlrev_b32_e32 v5, 2, v5
	s_waitcnt lgkmcnt(0)
	v_max_f32_e32 v7, v7, v7
	v_max_f32_e32 v2, v2, v7
	ds_bpermute_b32 v7, v8, v2
	s_waitcnt lgkmcnt(0)
	v_max_f32_e32 v7, v7, v7
	v_max_f32_e32 v2, v2, v7
	ds_bpermute_b32 v7, v9, v2
	;; [unrolled: 4-line block ×4, first 2 shown]
	s_waitcnt lgkmcnt(0)
	v_max_f32_e32 v7, v7, v7
	v_max_f32_e32 v2, v2, v7
	v_sub_f32_e32 v2, v6, v2
	v_mul_f32_e32 v6, 0x3fb8aa3b, v2
	v_cmp_ngt_f32_e32 vcc_lo, 0xc2ce8ed0, v2
	v_fma_f32 v7, 0x3fb8aa3b, v2, -v6
	v_rndne_f32_e32 v11, v6
	v_fmamk_f32 v7, v2, 0x32a5705f, v7
	v_sub_f32_e32 v6, v6, v11
	v_add_f32_e32 v6, v6, v7
	v_cvt_i32_f32_e32 v7, v11
	v_exp_f32_e32 v6, v6
	v_ldexp_f32 v6, v6, v7
	v_cndmask_b32_e32 v6, 0, v6, vcc_lo
	v_cmp_nlt_f32_e32 vcc_lo, 0x42b17218, v2
	v_cndmask_b32_e32 v2, 0x7f800000, v6, vcc_lo
	v_cndmask_b32_e64 v6, 0, v2, s1
	ds_bpermute_b32 v3, v3, v6
	s_waitcnt lgkmcnt(0)
	v_add_f32_e32 v3, v6, v3
	ds_bpermute_b32 v6, v8, v3
	s_waitcnt lgkmcnt(0)
	v_add_f32_e32 v3, v3, v6
	;; [unrolled: 3-line block ×4, first 2 shown]
	v_mov_b32_e32 v6, 0
	ds_bpermute_b32 v5, v5, v3
	s_and_saveexec_b32 s0, s1
	s_cbranch_execz .LBB15_45
; %bb.44:
	s_waitcnt lgkmcnt(0)
	v_add_f32_e32 v3, v3, v5
	v_div_scale_f32 v5, null, v3, v3, 1.0
	v_rcp_f32_e32 v6, v5
	v_fma_f32 v7, -v5, v6, 1.0
	v_fmac_f32_e32 v6, v7, v6
	v_div_scale_f32 v7, vcc_lo, 1.0, v3, 1.0
	v_mul_f32_e32 v8, v7, v6
	v_fma_f32 v9, -v5, v8, v7
	v_fmac_f32_e32 v8, v9, v6
	v_fma_f32 v5, -v5, v8, v7
	v_div_fmas_f32 v5, v5, v6, v8
	v_div_fixup_f32 v3, v5, v3, 1.0
	v_mul_f32_e32 v6, v2, v3
.LBB15_45:
	s_or_b32 exec_lo, exec_lo, s0
	v_cmp_gt_i32_e32 vcc_lo, s9, v0
	s_and_b32 exec_lo, exec_lo, vcc_lo
	s_cbranch_execnz .LBB15_40
	s_branch .LBB15_41
	.section	.rodata,"a",@progbits
	.p2align	6, 0x0
	.amdhsa_kernel _Z13topk_moe_cudaILi16ELb0EEvPKfPfPiS2_iiff15topk_moe_config
		.amdhsa_group_segment_fixed_size 0
		.amdhsa_private_segment_fixed_size 0
		.amdhsa_kernarg_size 312
		.amdhsa_user_sgpr_count 6
		.amdhsa_user_sgpr_private_segment_buffer 1
		.amdhsa_user_sgpr_dispatch_ptr 0
		.amdhsa_user_sgpr_queue_ptr 0
		.amdhsa_user_sgpr_kernarg_segment_ptr 1
		.amdhsa_user_sgpr_dispatch_id 0
		.amdhsa_user_sgpr_flat_scratch_init 0
		.amdhsa_user_sgpr_private_segment_size 0
		.amdhsa_wavefront_size32 1
		.amdhsa_uses_dynamic_stack 0
		.amdhsa_system_sgpr_private_segment_wavefront_offset 0
		.amdhsa_system_sgpr_workgroup_id_x 1
		.amdhsa_system_sgpr_workgroup_id_y 0
		.amdhsa_system_sgpr_workgroup_id_z 0
		.amdhsa_system_sgpr_workgroup_info 0
		.amdhsa_system_vgpr_workitem_id 1
		.amdhsa_next_free_vgpr 19
		.amdhsa_next_free_sgpr 12
		.amdhsa_reserve_vcc 1
		.amdhsa_reserve_flat_scratch 0
		.amdhsa_float_round_mode_32 0
		.amdhsa_float_round_mode_16_64 0
		.amdhsa_float_denorm_mode_32 3
		.amdhsa_float_denorm_mode_16_64 3
		.amdhsa_dx10_clamp 1
		.amdhsa_ieee_mode 1
		.amdhsa_fp16_overflow 0
		.amdhsa_workgroup_processor_mode 1
		.amdhsa_memory_ordered 1
		.amdhsa_forward_progress 1
		.amdhsa_shared_vgpr_count 0
		.amdhsa_exception_fp_ieee_invalid_op 0
		.amdhsa_exception_fp_denorm_src 0
		.amdhsa_exception_fp_ieee_div_zero 0
		.amdhsa_exception_fp_ieee_overflow 0
		.amdhsa_exception_fp_ieee_underflow 0
		.amdhsa_exception_fp_ieee_inexact 0
		.amdhsa_exception_int_div_zero 0
	.end_amdhsa_kernel
	.section	.text._Z13topk_moe_cudaILi16ELb0EEvPKfPfPiS2_iiff15topk_moe_config,"axG",@progbits,_Z13topk_moe_cudaILi16ELb0EEvPKfPfPiS2_iiff15topk_moe_config,comdat
.Lfunc_end15:
	.size	_Z13topk_moe_cudaILi16ELb0EEvPKfPfPiS2_iiff15topk_moe_config, .Lfunc_end15-_Z13topk_moe_cudaILi16ELb0EEvPKfPfPiS2_iiff15topk_moe_config
                                        ; -- End function
	.set _Z13topk_moe_cudaILi16ELb0EEvPKfPfPiS2_iiff15topk_moe_config.num_vgpr, 19
	.set _Z13topk_moe_cudaILi16ELb0EEvPKfPfPiS2_iiff15topk_moe_config.num_agpr, 0
	.set _Z13topk_moe_cudaILi16ELb0EEvPKfPfPiS2_iiff15topk_moe_config.numbered_sgpr, 12
	.set _Z13topk_moe_cudaILi16ELb0EEvPKfPfPiS2_iiff15topk_moe_config.num_named_barrier, 0
	.set _Z13topk_moe_cudaILi16ELb0EEvPKfPfPiS2_iiff15topk_moe_config.private_seg_size, 0
	.set _Z13topk_moe_cudaILi16ELb0EEvPKfPfPiS2_iiff15topk_moe_config.uses_vcc, 1
	.set _Z13topk_moe_cudaILi16ELb0EEvPKfPfPiS2_iiff15topk_moe_config.uses_flat_scratch, 0
	.set _Z13topk_moe_cudaILi16ELb0EEvPKfPfPiS2_iiff15topk_moe_config.has_dyn_sized_stack, 0
	.set _Z13topk_moe_cudaILi16ELb0EEvPKfPfPiS2_iiff15topk_moe_config.has_recursion, 0
	.set _Z13topk_moe_cudaILi16ELb0EEvPKfPfPiS2_iiff15topk_moe_config.has_indirect_call, 0
	.section	.AMDGPU.csdata,"",@progbits
; Kernel info:
; codeLenInByte = 2540
; TotalNumSgprs: 14
; NumVgprs: 19
; ScratchSize: 0
; MemoryBound: 0
; FloatMode: 240
; IeeeMode: 1
; LDSByteSize: 0 bytes/workgroup (compile time only)
; SGPRBlocks: 0
; VGPRBlocks: 2
; NumSGPRsForWavesPerEU: 14
; NumVGPRsForWavesPerEU: 19
; Occupancy: 16
; WaveLimiterHint : 0
; COMPUTE_PGM_RSRC2:SCRATCH_EN: 0
; COMPUTE_PGM_RSRC2:USER_SGPR: 6
; COMPUTE_PGM_RSRC2:TRAP_HANDLER: 0
; COMPUTE_PGM_RSRC2:TGID_X_EN: 1
; COMPUTE_PGM_RSRC2:TGID_Y_EN: 0
; COMPUTE_PGM_RSRC2:TGID_Z_EN: 0
; COMPUTE_PGM_RSRC2:TIDIG_COMP_CNT: 1
	.section	.text._Z13topk_moe_cudaILi32ELb0EEvPKfPfPiS2_iiff15topk_moe_config,"axG",@progbits,_Z13topk_moe_cudaILi32ELb0EEvPKfPfPiS2_iiff15topk_moe_config,comdat
	.protected	_Z13topk_moe_cudaILi32ELb0EEvPKfPfPiS2_iiff15topk_moe_config ; -- Begin function _Z13topk_moe_cudaILi32ELb0EEvPKfPfPiS2_iiff15topk_moe_config
	.globl	_Z13topk_moe_cudaILi32ELb0EEvPKfPfPiS2_iiff15topk_moe_config
	.p2align	8
	.type	_Z13topk_moe_cudaILi32ELb0EEvPKfPfPiS2_iiff15topk_moe_config,@function
_Z13topk_moe_cudaILi32ELb0EEvPKfPfPiS2_iiff15topk_moe_config: ; @_Z13topk_moe_cudaILi32ELb0EEvPKfPfPiS2_iiff15topk_moe_config
; %bb.0:
	s_clause 0x1
	s_load_dword s7, s[4:5], 0x44
	s_load_dwordx4 s[0:3], s[4:5], 0x20
	s_waitcnt lgkmcnt(0)
	s_lshr_b32 s7, s7, 16
	v_mad_u64_u32 v[1:2], null, s6, s7, v[1:2]
	v_cmp_gt_i32_e32 vcc_lo, s0, v1
	s_and_saveexec_b32 s0, vcc_lo
	s_cbranch_execz .LBB16_39
; %bb.1:
	s_load_dwordx4 s[8:11], s[4:5], 0x0
	v_lshlrev_b32_e32 v2, 5, v1
	v_mov_b32_e32 v4, 0
	s_load_dwordx2 s[6:7], s[4:5], 0x10
	v_ashrrev_i32_e32 v3, 31, v2
	global_load_ushort v5, v4, s[4:5] offset:48
	v_lshlrev_b32_e32 v4, 2, v0
	s_load_dword s4, s[4:5], 0x30
	v_lshlrev_b64 v[2:3], 2, v[2:3]
	s_waitcnt lgkmcnt(0)
	v_add_co_u32 v6, vcc_lo, s8, v2
	v_add_co_ci_u32_e64 v7, null, s9, v3, vcc_lo
	v_add_co_u32 v6, vcc_lo, v6, v4
	v_add_co_ci_u32_e64 v7, null, 0, v7, vcc_lo
	global_load_dword v8, v[6:7], off
	s_waitcnt vmcnt(1)
	v_readfirstlane_b32 s0, v5
	s_and_b32 s0, 0xffff, s0
	s_bitcmp1_b32 s4, 16
	s_cselect_b32 s4, -1, 0
	s_and_b32 vcc_lo, exec_lo, s4
	s_cbranch_vccnz .LBB16_7
; %bb.2:
	v_and_b32_e32 v5, 1, v5
	s_mov_b32 s5, 0
	v_cmp_eq_u32_e32 vcc_lo, 0, v5
	s_cbranch_vccz .LBB16_4
; %bb.3:
	v_mbcnt_lo_u32_b32 v5, -1, 0
	s_waitcnt vmcnt(0)
	v_max_f32_e32 v7, v8, v8
	v_xor_b32_e32 v6, 16, v5
	v_max_f32_e32 v7, 0xff800000, v7
	v_xor_b32_e32 v10, 8, v5
	v_xor_b32_e32 v11, 4, v5
	;; [unrolled: 1-line block ×3, first 2 shown]
	v_cmp_gt_i32_e32 vcc_lo, 32, v6
	v_xor_b32_e32 v13, 1, v5
	v_cndmask_b32_e32 v6, v5, v6, vcc_lo
	v_cmp_gt_i32_e32 vcc_lo, 32, v10
	v_lshlrev_b32_e32 v6, 2, v6
	v_cndmask_b32_e32 v10, v5, v10, vcc_lo
	v_cmp_gt_i32_e32 vcc_lo, 32, v11
	ds_bpermute_b32 v9, v6, v7
	v_lshlrev_b32_e32 v10, 2, v10
	v_cndmask_b32_e32 v11, v5, v11, vcc_lo
	v_cmp_gt_i32_e32 vcc_lo, 32, v12
	v_lshlrev_b32_e32 v11, 2, v11
	v_cndmask_b32_e32 v12, v5, v12, vcc_lo
	v_cmp_gt_i32_e32 vcc_lo, 32, v13
	v_lshlrev_b32_e32 v12, 2, v12
	v_cndmask_b32_e32 v5, v5, v13, vcc_lo
	v_lshlrev_b32_e32 v5, 2, v5
	s_waitcnt lgkmcnt(0)
	v_max_f32_e32 v9, v9, v9
	v_max_f32_e32 v7, v7, v9
	ds_bpermute_b32 v9, v10, v7
	s_waitcnt lgkmcnt(0)
	v_max_f32_e32 v9, v9, v9
	v_max_f32_e32 v7, v7, v9
	ds_bpermute_b32 v9, v11, v7
	;; [unrolled: 4-line block ×4, first 2 shown]
	s_waitcnt lgkmcnt(0)
	v_max_f32_e32 v9, v9, v9
	v_max_f32_e32 v7, v7, v9
	v_sub_f32_e32 v7, v8, v7
	v_mul_f32_e32 v9, 0x3fb8aa3b, v7
	v_cmp_ngt_f32_e32 vcc_lo, 0xc2ce8ed0, v7
	v_fma_f32 v13, 0x3fb8aa3b, v7, -v9
	v_rndne_f32_e32 v14, v9
	v_fmamk_f32 v13, v7, 0x32a5705f, v13
	v_sub_f32_e32 v9, v9, v14
	v_add_f32_e32 v9, v9, v13
	v_cvt_i32_f32_e32 v13, v14
	v_exp_f32_e32 v9, v9
	v_ldexp_f32 v9, v9, v13
	v_cndmask_b32_e32 v9, 0, v9, vcc_lo
	v_cmp_nlt_f32_e32 vcc_lo, 0x42b17218, v7
	v_cndmask_b32_e32 v7, 0x7f800000, v9, vcc_lo
	ds_bpermute_b32 v6, v6, v7
	s_waitcnt lgkmcnt(0)
	v_add_f32_e32 v6, v7, v6
	ds_bpermute_b32 v9, v10, v6
	s_waitcnt lgkmcnt(0)
	v_add_f32_e32 v6, v6, v9
	;; [unrolled: 3-line block ×5, first 2 shown]
	v_div_scale_f32 v6, null, v5, v5, 1.0
	v_rcp_f32_e32 v9, v6
	v_fma_f32 v10, -v6, v9, 1.0
	v_fmac_f32_e32 v9, v10, v9
	v_div_scale_f32 v10, vcc_lo, 1.0, v5, 1.0
	v_mul_f32_e32 v11, v10, v9
	v_fma_f32 v12, -v6, v11, v10
	v_fmac_f32_e32 v11, v12, v9
	v_fma_f32 v6, -v6, v11, v10
	v_div_fmas_f32 v6, v6, v9, v11
	v_div_fixup_f32 v5, v6, v5, 1.0
	v_mul_f32_e32 v5, v7, v5
	s_andn2_b32 vcc_lo, exec_lo, s5
	s_cbranch_vccz .LBB16_5
	s_branch .LBB16_6
.LBB16_4:
                                        ; implicit-def: $vgpr5
.LBB16_5:
	s_waitcnt vmcnt(0)
	v_mul_f32_e32 v5, 0xbfb8aa3b, v8
	v_cmp_nlt_f32_e32 vcc_lo, 0x42ce8ed0, v8
	v_rndne_f32_e32 v6, v5
	v_fma_f32 v7, 0xbfb8aa3b, v8, -v5
	v_sub_f32_e32 v5, v5, v6
	v_fmamk_f32 v7, v8, 0xb2a5705f, v7
	v_cvt_i32_f32_e32 v6, v6
	v_add_f32_e32 v5, v5, v7
	v_exp_f32_e32 v5, v5
	v_ldexp_f32 v5, v5, v6
	v_cndmask_b32_e32 v5, 0, v5, vcc_lo
	v_cmp_ngt_f32_e32 vcc_lo, 0xc2b17218, v8
	v_cndmask_b32_e32 v5, 0x7f800000, v5, vcc_lo
	v_add_f32_e32 v5, 1.0, v5
	v_div_scale_f32 v6, null, v5, v5, 1.0
	v_rcp_f32_e32 v7, v6
	v_fma_f32 v8, -v6, v7, 1.0
	v_fmac_f32_e32 v7, v8, v7
	v_div_scale_f32 v8, vcc_lo, 1.0, v5, 1.0
	v_mul_f32_e32 v9, v8, v7
	v_fma_f32 v10, -v6, v9, v8
	v_fmac_f32_e32 v9, v10, v7
	v_fma_f32 v6, -v6, v9, v8
	v_div_fmas_f32 v6, v6, v7, v9
	v_div_fixup_f32 v5, v6, v5, 1.0
.LBB16_6:
	s_waitcnt vmcnt(0)
	v_mov_b32_e32 v8, v5
.LBB16_7:
	s_lshr_b32 s0, s0, 8
	s_cmp_gt_i32 s1, 0
	s_mov_b32 s8, 0
	s_cbranch_scc1 .LBB16_9
; %bb.8:
	s_bitcmp1_b32 s0, 0
	s_cselect_b32 s5, -1, 0
	s_branch .LBB16_10
.LBB16_9:
	s_mov_b32 s8, -1
                                        ; implicit-def: $sgpr5
.LBB16_10:
	v_mov_b32_e32 v7, 0
	v_mbcnt_lo_u32_b32 v5, -1, 0
	v_mov_b32_e32 v6, 0
	s_andn2_b32 vcc_lo, exec_lo, s8
	s_cbranch_vccnz .LBB16_35
; %bb.11:
	v_add_co_u32 v2, vcc_lo, s6, v2
	v_xor_b32_e32 v6, 16, v5
	v_add_co_ci_u32_e64 v3, null, s7, v3, vcc_lo
	s_waitcnt vmcnt(0)
	v_cmp_o_f32_e32 vcc_lo, v8, v8
	v_xor_b32_e32 v7, 8, v5
	v_xor_b32_e32 v9, 4, v5
	v_xor_b32_e32 v10, 2, v5
	v_xor_b32_e32 v11, 1, v5
	v_cndmask_b32_e32 v8, 0xff7fffff, v8, vcc_lo
	v_cmp_gt_i32_e32 vcc_lo, 32, v6
	s_bitcmp1_b32 s0, 0
	s_mov_b32 s6, 0
	s_cselect_b32 s5, -1, 0
	v_cndmask_b32_e32 v6, v5, v6, vcc_lo
	v_cmp_gt_i32_e32 vcc_lo, 32, v7
	v_cndmask_b32_e32 v7, v5, v7, vcc_lo
	v_cmp_gt_i32_e32 vcc_lo, 32, v9
	;; [unrolled: 2-line block ×3, first 2 shown]
	v_lshlrev_b32_e32 v9, 2, v6
	v_mov_b32_e32 v6, 0
	v_cndmask_b32_e32 v13, v5, v10, vcc_lo
	v_cmp_gt_i32_e32 vcc_lo, 32, v11
	v_lshlrev_b32_e32 v10, 2, v7
	v_mov_b32_e32 v7, 0
	v_cndmask_b32_e32 v14, v5, v11, vcc_lo
	v_lshlrev_b32_e32 v11, 2, v12
	v_lshlrev_b32_e32 v12, 2, v13
	;; [unrolled: 1-line block ×3, first 2 shown]
	s_branch .LBB16_13
.LBB16_12:                              ;   in Loop: Header=BB16_13 Depth=1
	s_or_b32 exec_lo, exec_lo, s0
	s_and_b32 s0, s6, 31
	v_cndmask_b32_e64 v8, v8, 0xff800000, vcc_lo
	v_cmp_eq_u32_e32 vcc_lo, s0, v0
	s_add_i32 s6, s6, 1
	s_cmp_eq_u32 s1, s6
	v_cndmask_b32_e32 v6, v6, v14, vcc_lo
	v_add_co_u32 v2, vcc_lo, v2, 4
	v_add_co_ci_u32_e64 v3, null, 0, v3, vcc_lo
	s_cbranch_scc1 .LBB16_35
.LBB16_13:                              ; =>This Inner Loop Header: Depth=1
	s_waitcnt lgkmcnt(0)
	ds_bpermute_b32 v17, v9, v8
	ds_bpermute_b32 v18, v9, v0
	s_mov_b32 s8, exec_lo
	s_waitcnt lgkmcnt(1)
	v_cmp_lt_f32_e64 s7, v8, v17
	v_cmpx_nlt_f32_e32 v8, v17
	s_cbranch_execz .LBB16_15
; %bb.14:                               ;   in Loop: Header=BB16_13 Depth=1
	v_cmp_eq_f32_e32 vcc_lo, v8, v17
	s_waitcnt lgkmcnt(0)
	v_cmp_lt_i32_e64 s0, v18, v0
	s_andn2_b32 s7, s7, exec_lo
	s_and_b32 s0, vcc_lo, s0
	s_and_b32 s0, s0, exec_lo
	s_or_b32 s7, s7, s0
.LBB16_15:                              ;   in Loop: Header=BB16_13 Depth=1
	s_or_b32 exec_lo, exec_lo, s8
	v_mov_b32_e32 v16, v8
	v_mov_b32_e32 v14, v8
	;; [unrolled: 1-line block ×3, first 2 shown]
	s_and_saveexec_b32 s0, s7
	s_cbranch_execz .LBB16_17
; %bb.16:                               ;   in Loop: Header=BB16_13 Depth=1
	v_mov_b32_e32 v16, v17
	v_mov_b32_e32 v14, v17
	s_waitcnt lgkmcnt(0)
	v_mov_b32_e32 v15, v18
.LBB16_17:                              ;   in Loop: Header=BB16_13 Depth=1
	s_or_b32 exec_lo, exec_lo, s0
	ds_bpermute_b32 v17, v10, v16
	s_waitcnt lgkmcnt(1)
	ds_bpermute_b32 v18, v10, v15
	s_mov_b32 s8, exec_lo
	s_waitcnt lgkmcnt(1)
	v_cmp_lt_f32_e64 s7, v14, v17
	v_cmpx_nlt_f32_e32 v14, v17
	s_cbranch_execz .LBB16_19
; %bb.18:                               ;   in Loop: Header=BB16_13 Depth=1
	v_cmp_eq_f32_e32 vcc_lo, v14, v17
	s_waitcnt lgkmcnt(0)
	v_cmp_lt_i32_e64 s0, v18, v15
	s_andn2_b32 s7, s7, exec_lo
	s_and_b32 s0, vcc_lo, s0
	s_and_b32 s0, s0, exec_lo
	s_or_b32 s7, s7, s0
.LBB16_19:                              ;   in Loop: Header=BB16_13 Depth=1
	s_or_b32 exec_lo, exec_lo, s8
	s_and_saveexec_b32 s0, s7
	s_cbranch_execz .LBB16_21
; %bb.20:                               ;   in Loop: Header=BB16_13 Depth=1
	v_mov_b32_e32 v16, v17
	v_mov_b32_e32 v14, v17
	s_waitcnt lgkmcnt(0)
	v_mov_b32_e32 v15, v18
.LBB16_21:                              ;   in Loop: Header=BB16_13 Depth=1
	s_or_b32 exec_lo, exec_lo, s0
	ds_bpermute_b32 v17, v11, v16
	s_waitcnt lgkmcnt(1)
	ds_bpermute_b32 v18, v11, v15
	s_mov_b32 s8, exec_lo
	s_waitcnt lgkmcnt(1)
	v_cmp_lt_f32_e64 s7, v14, v17
	v_cmpx_nlt_f32_e32 v14, v17
	s_cbranch_execz .LBB16_23
; %bb.22:                               ;   in Loop: Header=BB16_13 Depth=1
	v_cmp_eq_f32_e32 vcc_lo, v14, v17
	s_waitcnt lgkmcnt(0)
	v_cmp_lt_i32_e64 s0, v18, v15
	s_andn2_b32 s7, s7, exec_lo
	s_and_b32 s0, vcc_lo, s0
	s_and_b32 s0, s0, exec_lo
	s_or_b32 s7, s7, s0
.LBB16_23:                              ;   in Loop: Header=BB16_13 Depth=1
	s_or_b32 exec_lo, exec_lo, s8
	;; [unrolled: 27-line block ×3, first 2 shown]
	s_and_saveexec_b32 s0, s7
	s_cbranch_execz .LBB16_29
; %bb.28:                               ;   in Loop: Header=BB16_13 Depth=1
	v_mov_b32_e32 v16, v17
	v_mov_b32_e32 v14, v17
	s_waitcnt lgkmcnt(0)
	v_mov_b32_e32 v15, v18
.LBB16_29:                              ;   in Loop: Header=BB16_13 Depth=1
	s_or_b32 exec_lo, exec_lo, s0
	ds_bpermute_b32 v16, v13, v16
	ds_bpermute_b32 v17, v13, v15
	s_mov_b32 s8, exec_lo
	s_waitcnt lgkmcnt(1)
	v_cmp_lt_f32_e64 s7, v14, v16
	v_cmpx_nlt_f32_e32 v14, v16
	s_cbranch_execz .LBB16_31
; %bb.30:                               ;   in Loop: Header=BB16_13 Depth=1
	v_cmp_eq_f32_e32 vcc_lo, v14, v16
	s_waitcnt lgkmcnt(0)
	v_cmp_lt_i32_e64 s0, v17, v15
	s_andn2_b32 s7, s7, exec_lo
	s_and_b32 s0, vcc_lo, s0
	s_and_b32 s0, s0, exec_lo
	s_or_b32 s7, s7, s0
.LBB16_31:                              ;   in Loop: Header=BB16_13 Depth=1
	s_or_b32 exec_lo, exec_lo, s8
	s_and_saveexec_b32 s0, s7
	s_cbranch_execz .LBB16_33
; %bb.32:                               ;   in Loop: Header=BB16_13 Depth=1
	v_mov_b32_e32 v14, v16
	s_waitcnt lgkmcnt(0)
	v_mov_b32_e32 v15, v17
.LBB16_33:                              ;   in Loop: Header=BB16_13 Depth=1
	s_or_b32 exec_lo, exec_lo, s0
	v_and_b32_e32 v16, 31, v15
	v_cmp_eq_u32_e32 vcc_lo, v16, v0
	s_and_saveexec_b32 s0, vcc_lo
	s_cbranch_execz .LBB16_12
; %bb.34:                               ;   in Loop: Header=BB16_13 Depth=1
	v_add_f32_e32 v16, v7, v14
	global_store_dword v[2:3], v15, off
	v_cndmask_b32_e64 v7, v7, v16, s5
	s_branch .LBB16_12
.LBB16_35:
	s_and_b32 vcc_lo, exec_lo, s5
	s_cbranch_vccnz .LBB16_40
; %bb.36:
	v_cmp_gt_i32_e64 s0, s1, v0
	s_andn2_b32 vcc_lo, exec_lo, s4
	s_cbranch_vccz .LBB16_41
.LBB16_37:
	v_cmp_gt_i32_e32 vcc_lo, s1, v0
	s_and_b32 exec_lo, exec_lo, vcc_lo
	s_cbranch_execz .LBB16_39
.LBB16_38:
	v_mul_lo_u32 v0, v1, s1
	v_mul_f32_e32 v2, s3, v6
	v_ashrrev_i32_e32 v1, 31, v0
	v_lshlrev_b64 v[0:1], 2, v[0:1]
	v_add_co_u32 v0, vcc_lo, s10, v0
	v_add_co_ci_u32_e64 v1, null, s11, v1, vcc_lo
	v_add_co_u32 v0, vcc_lo, v0, v4
	v_add_co_ci_u32_e64 v1, null, 0, v1, vcc_lo
	global_store_dword v[0:1], v2, off
.LBB16_39:
	s_endpgm
.LBB16_40:
	v_xor_b32_e32 v2, 16, v5
	v_xor_b32_e32 v3, 8, v5
	v_cmp_gt_i32_e32 vcc_lo, 32, v2
	v_cndmask_b32_e32 v2, v5, v2, vcc_lo
	v_cmp_gt_i32_e32 vcc_lo, 32, v3
	v_lshlrev_b32_e32 v2, 2, v2
	v_cndmask_b32_e32 v3, v5, v3, vcc_lo
	ds_bpermute_b32 v2, v2, v7
	v_lshlrev_b32_e32 v3, 2, v3
	s_waitcnt lgkmcnt(0)
	v_add_f32_e32 v2, v7, v2
	v_xor_b32_e32 v7, 4, v5
	ds_bpermute_b32 v3, v3, v2
	v_cmp_gt_i32_e32 vcc_lo, 32, v7
	v_cndmask_b32_e32 v7, v5, v7, vcc_lo
	v_lshlrev_b32_e32 v7, 2, v7
	s_waitcnt lgkmcnt(0)
	v_add_f32_e32 v2, v2, v3
	ds_bpermute_b32 v3, v7, v2
	v_xor_b32_e32 v7, 2, v5
	v_cmp_gt_i32_e32 vcc_lo, 32, v7
	v_cndmask_b32_e32 v7, v5, v7, vcc_lo
	v_lshlrev_b32_e32 v7, 2, v7
	s_waitcnt lgkmcnt(0)
	v_add_f32_e32 v2, v2, v3
	ds_bpermute_b32 v3, v7, v2
	v_xor_b32_e32 v7, 1, v5
	v_cmp_gt_i32_e32 vcc_lo, 32, v7
	v_cndmask_b32_e32 v7, v5, v7, vcc_lo
	v_lshlrev_b32_e32 v7, 2, v7
	s_waitcnt lgkmcnt(0)
	v_add_f32_e32 v2, v2, v3
	ds_bpermute_b32 v3, v7, v2
	v_max_f32_e64 v7, s2, s2
	s_waitcnt lgkmcnt(0)
	v_add_f32_e32 v2, v2, v3
	v_max_f32_e32 v2, v2, v7
	v_div_scale_f32 v3, null, v2, v2, 1.0
	v_rcp_f32_e32 v7, v3
	s_waitcnt vmcnt(0)
	v_fma_f32 v8, -v3, v7, 1.0
	v_fmac_f32_e32 v7, v8, v7
	v_div_scale_f32 v8, vcc_lo, 1.0, v2, 1.0
	v_mul_f32_e32 v9, v8, v7
	v_fma_f32 v10, -v3, v9, v8
	v_fmac_f32_e32 v9, v10, v7
	v_fma_f32 v3, -v3, v9, v8
	v_div_fmas_f32 v3, v3, v7, v9
	v_div_fixup_f32 v2, v3, v2, 1.0
	v_mul_f32_e32 v6, v2, v6
	v_cmp_gt_i32_e64 s0, s1, v0
	s_andn2_b32 vcc_lo, exec_lo, s4
	s_cbranch_vccnz .LBB16_37
.LBB16_41:
	v_xor_b32_e32 v3, 16, v5
	v_max_f32_e32 v2, v6, v6
	s_waitcnt vmcnt(0)
	v_xor_b32_e32 v8, 8, v5
	v_xor_b32_e32 v9, 4, v5
	;; [unrolled: 1-line block ×3, first 2 shown]
	v_cmp_gt_i32_e32 vcc_lo, 32, v3
	v_max_f32_e32 v2, 0xff800000, v2
	v_xor_b32_e32 v11, 1, v5
	v_cndmask_b32_e32 v3, v5, v3, vcc_lo
	v_cndmask_b32_e64 v2, 0xff800000, v2, s0
	v_cmp_gt_i32_e32 vcc_lo, 32, v8
	v_lshlrev_b32_e32 v3, 2, v3
	v_cndmask_b32_e32 v8, v5, v8, vcc_lo
	v_cmp_gt_i32_e32 vcc_lo, 32, v9
	ds_bpermute_b32 v7, v3, v2
	v_lshlrev_b32_e32 v8, 2, v8
	v_cndmask_b32_e32 v9, v5, v9, vcc_lo
	v_cmp_gt_i32_e32 vcc_lo, 32, v10
	v_lshlrev_b32_e32 v9, 2, v9
	v_cndmask_b32_e32 v10, v5, v10, vcc_lo
	v_cmp_gt_i32_e32 vcc_lo, 32, v11
	v_lshlrev_b32_e32 v10, 2, v10
	v_cndmask_b32_e32 v5, v5, v11, vcc_lo
	v_lshlrev_b32_e32 v5, 2, v5
	s_waitcnt lgkmcnt(0)
	v_max_f32_e32 v7, v7, v7
	v_max_f32_e32 v2, v2, v7
	ds_bpermute_b32 v7, v8, v2
	s_waitcnt lgkmcnt(0)
	v_max_f32_e32 v7, v7, v7
	v_max_f32_e32 v2, v2, v7
	ds_bpermute_b32 v7, v9, v2
	;; [unrolled: 4-line block ×4, first 2 shown]
	s_waitcnt lgkmcnt(0)
	v_max_f32_e32 v7, v7, v7
	v_max_f32_e32 v2, v2, v7
	v_sub_f32_e32 v2, v6, v2
	v_mul_f32_e32 v6, 0x3fb8aa3b, v2
	v_cmp_ngt_f32_e32 vcc_lo, 0xc2ce8ed0, v2
	v_fma_f32 v7, 0x3fb8aa3b, v2, -v6
	v_rndne_f32_e32 v11, v6
	v_fmamk_f32 v7, v2, 0x32a5705f, v7
	v_sub_f32_e32 v6, v6, v11
	v_add_f32_e32 v6, v6, v7
	v_cvt_i32_f32_e32 v7, v11
	v_exp_f32_e32 v6, v6
	v_ldexp_f32 v6, v6, v7
	v_cndmask_b32_e32 v6, 0, v6, vcc_lo
	v_cmp_nlt_f32_e32 vcc_lo, 0x42b17218, v2
	v_cndmask_b32_e32 v2, 0x7f800000, v6, vcc_lo
	v_cndmask_b32_e64 v6, 0, v2, s0
	ds_bpermute_b32 v3, v3, v6
	s_waitcnt lgkmcnt(0)
	v_add_f32_e32 v3, v6, v3
	ds_bpermute_b32 v6, v8, v3
	s_waitcnt lgkmcnt(0)
	v_add_f32_e32 v3, v3, v6
	ds_bpermute_b32 v6, v9, v3
	s_waitcnt lgkmcnt(0)
	v_add_f32_e32 v3, v3, v6
	ds_bpermute_b32 v6, v10, v3
	s_waitcnt lgkmcnt(0)
	v_add_f32_e32 v3, v3, v6
	v_mov_b32_e32 v6, 0
	ds_bpermute_b32 v5, v5, v3
	s_and_saveexec_b32 s2, s0
	s_cbranch_execz .LBB16_43
; %bb.42:
	s_waitcnt lgkmcnt(0)
	v_add_f32_e32 v3, v3, v5
	v_div_scale_f32 v5, null, v3, v3, 1.0
	v_rcp_f32_e32 v6, v5
	v_fma_f32 v7, -v5, v6, 1.0
	v_fmac_f32_e32 v6, v7, v6
	v_div_scale_f32 v7, vcc_lo, 1.0, v3, 1.0
	v_mul_f32_e32 v8, v7, v6
	v_fma_f32 v9, -v5, v8, v7
	v_fmac_f32_e32 v8, v9, v6
	v_fma_f32 v5, -v5, v8, v7
	v_div_fmas_f32 v5, v5, v6, v8
	v_div_fixup_f32 v3, v5, v3, 1.0
	v_mul_f32_e32 v6, v2, v3
.LBB16_43:
	s_or_b32 exec_lo, exec_lo, s2
	v_cmp_gt_i32_e32 vcc_lo, s1, v0
	s_and_b32 exec_lo, exec_lo, vcc_lo
	s_cbranch_execnz .LBB16_38
	s_branch .LBB16_39
	.section	.rodata,"a",@progbits
	.p2align	6, 0x0
	.amdhsa_kernel _Z13topk_moe_cudaILi32ELb0EEvPKfPfPiS2_iiff15topk_moe_config
		.amdhsa_group_segment_fixed_size 0
		.amdhsa_private_segment_fixed_size 0
		.amdhsa_kernarg_size 312
		.amdhsa_user_sgpr_count 6
		.amdhsa_user_sgpr_private_segment_buffer 1
		.amdhsa_user_sgpr_dispatch_ptr 0
		.amdhsa_user_sgpr_queue_ptr 0
		.amdhsa_user_sgpr_kernarg_segment_ptr 1
		.amdhsa_user_sgpr_dispatch_id 0
		.amdhsa_user_sgpr_flat_scratch_init 0
		.amdhsa_user_sgpr_private_segment_size 0
		.amdhsa_wavefront_size32 1
		.amdhsa_uses_dynamic_stack 0
		.amdhsa_system_sgpr_private_segment_wavefront_offset 0
		.amdhsa_system_sgpr_workgroup_id_x 1
		.amdhsa_system_sgpr_workgroup_id_y 0
		.amdhsa_system_sgpr_workgroup_id_z 0
		.amdhsa_system_sgpr_workgroup_info 0
		.amdhsa_system_vgpr_workitem_id 1
		.amdhsa_next_free_vgpr 19
		.amdhsa_next_free_sgpr 12
		.amdhsa_reserve_vcc 1
		.amdhsa_reserve_flat_scratch 0
		.amdhsa_float_round_mode_32 0
		.amdhsa_float_round_mode_16_64 0
		.amdhsa_float_denorm_mode_32 3
		.amdhsa_float_denorm_mode_16_64 3
		.amdhsa_dx10_clamp 1
		.amdhsa_ieee_mode 1
		.amdhsa_fp16_overflow 0
		.amdhsa_workgroup_processor_mode 1
		.amdhsa_memory_ordered 1
		.amdhsa_forward_progress 1
		.amdhsa_shared_vgpr_count 0
		.amdhsa_exception_fp_ieee_invalid_op 0
		.amdhsa_exception_fp_denorm_src 0
		.amdhsa_exception_fp_ieee_div_zero 0
		.amdhsa_exception_fp_ieee_overflow 0
		.amdhsa_exception_fp_ieee_underflow 0
		.amdhsa_exception_fp_ieee_inexact 0
		.amdhsa_exception_int_div_zero 0
	.end_amdhsa_kernel
	.section	.text._Z13topk_moe_cudaILi32ELb0EEvPKfPfPiS2_iiff15topk_moe_config,"axG",@progbits,_Z13topk_moe_cudaILi32ELb0EEvPKfPfPiS2_iiff15topk_moe_config,comdat
.Lfunc_end16:
	.size	_Z13topk_moe_cudaILi32ELb0EEvPKfPfPiS2_iiff15topk_moe_config, .Lfunc_end16-_Z13topk_moe_cudaILi32ELb0EEvPKfPfPiS2_iiff15topk_moe_config
                                        ; -- End function
	.set _Z13topk_moe_cudaILi32ELb0EEvPKfPfPiS2_iiff15topk_moe_config.num_vgpr, 19
	.set _Z13topk_moe_cudaILi32ELb0EEvPKfPfPiS2_iiff15topk_moe_config.num_agpr, 0
	.set _Z13topk_moe_cudaILi32ELb0EEvPKfPfPiS2_iiff15topk_moe_config.numbered_sgpr, 12
	.set _Z13topk_moe_cudaILi32ELb0EEvPKfPfPiS2_iiff15topk_moe_config.num_named_barrier, 0
	.set _Z13topk_moe_cudaILi32ELb0EEvPKfPfPiS2_iiff15topk_moe_config.private_seg_size, 0
	.set _Z13topk_moe_cudaILi32ELb0EEvPKfPfPiS2_iiff15topk_moe_config.uses_vcc, 1
	.set _Z13topk_moe_cudaILi32ELb0EEvPKfPfPiS2_iiff15topk_moe_config.uses_flat_scratch, 0
	.set _Z13topk_moe_cudaILi32ELb0EEvPKfPfPiS2_iiff15topk_moe_config.has_dyn_sized_stack, 0
	.set _Z13topk_moe_cudaILi32ELb0EEvPKfPfPiS2_iiff15topk_moe_config.has_recursion, 0
	.set _Z13topk_moe_cudaILi32ELb0EEvPKfPfPiS2_iiff15topk_moe_config.has_indirect_call, 0
	.section	.AMDGPU.csdata,"",@progbits
; Kernel info:
; codeLenInByte = 2524
; TotalNumSgprs: 14
; NumVgprs: 19
; ScratchSize: 0
; MemoryBound: 0
; FloatMode: 240
; IeeeMode: 1
; LDSByteSize: 0 bytes/workgroup (compile time only)
; SGPRBlocks: 0
; VGPRBlocks: 2
; NumSGPRsForWavesPerEU: 14
; NumVGPRsForWavesPerEU: 19
; Occupancy: 16
; WaveLimiterHint : 0
; COMPUTE_PGM_RSRC2:SCRATCH_EN: 0
; COMPUTE_PGM_RSRC2:USER_SGPR: 6
; COMPUTE_PGM_RSRC2:TRAP_HANDLER: 0
; COMPUTE_PGM_RSRC2:TGID_X_EN: 1
; COMPUTE_PGM_RSRC2:TGID_Y_EN: 0
; COMPUTE_PGM_RSRC2:TGID_Z_EN: 0
; COMPUTE_PGM_RSRC2:TIDIG_COMP_CNT: 1
	.section	.text._Z13topk_moe_cudaILi64ELb0EEvPKfPfPiS2_iiff15topk_moe_config,"axG",@progbits,_Z13topk_moe_cudaILi64ELb0EEvPKfPfPiS2_iiff15topk_moe_config,comdat
	.protected	_Z13topk_moe_cudaILi64ELb0EEvPKfPfPiS2_iiff15topk_moe_config ; -- Begin function _Z13topk_moe_cudaILi64ELb0EEvPKfPfPiS2_iiff15topk_moe_config
	.globl	_Z13topk_moe_cudaILi64ELb0EEvPKfPfPiS2_iiff15topk_moe_config
	.p2align	8
	.type	_Z13topk_moe_cudaILi64ELb0EEvPKfPfPiS2_iiff15topk_moe_config,@function
_Z13topk_moe_cudaILi64ELb0EEvPKfPfPiS2_iiff15topk_moe_config: ; @_Z13topk_moe_cudaILi64ELb0EEvPKfPfPiS2_iiff15topk_moe_config
; %bb.0:
	s_clause 0x1
	s_load_dword s0, s[4:5], 0x44
	s_load_dwordx4 s[8:11], s[4:5], 0x20
	s_waitcnt lgkmcnt(0)
	s_lshr_b32 s0, s0, 16
	v_mad_u64_u32 v[1:2], null, s6, s0, v[1:2]
	s_mov_b32 s0, exec_lo
	v_cmpx_gt_i32_e64 s8, v1
	s_cbranch_execz .LBB17_45
; %bb.1:
	s_load_dwordx4 s[0:3], s[4:5], 0x0
	v_lshlrev_b32_e32 v2, 6, v1
	v_mov_b32_e32 v4, 0
	v_lshlrev_b32_e32 v8, 2, v0
	s_load_dwordx2 s[6:7], s[4:5], 0x10
	v_ashrrev_i32_e32 v3, 31, v2
	global_load_ushort v6, v4, s[4:5] offset:48
	v_lshlrev_b64 v[2:3], 2, v[2:3]
	s_waitcnt lgkmcnt(0)
	v_add_co_u32 v4, vcc_lo, s0, v2
	v_add_co_ci_u32_e64 v5, null, s1, v3, vcc_lo
	s_load_dword s0, s[4:5], 0x30
	v_add_co_u32 v9, vcc_lo, v4, v8
	v_add_co_ci_u32_e64 v10, null, 0, v5, vcc_lo
	s_clause 0x1
	global_load_dword v4, v[9:10], off
	global_load_dword v5, v[9:10], off offset:128
	s_waitcnt vmcnt(2)
	v_readfirstlane_b32 s1, v6
	s_and_b32 s4, 0xffff, s1
	s_waitcnt lgkmcnt(0)
	s_bitcmp1_b32 s0, 16
	s_cselect_b32 s1, -1, 0
	s_and_b32 vcc_lo, exec_lo, s1
	s_cbranch_vccnz .LBB17_4
; %bb.2:
	v_and_b32_e32 v6, 1, v6
	s_mov_b32 s0, 0
	v_cmp_eq_u32_e32 vcc_lo, 0, v6
	s_cbranch_vccz .LBB17_6
; %bb.3:
	v_mbcnt_lo_u32_b32 v6, -1, 0
	s_waitcnt vmcnt(0)
	v_max3_f32 v9, v4, 0xff800000, v5
	v_xor_b32_e32 v7, 16, v6
	v_xor_b32_e32 v11, 8, v6
	v_xor_b32_e32 v12, 4, v6
	v_xor_b32_e32 v13, 2, v6
	v_xor_b32_e32 v14, 1, v6
	v_cmp_gt_i32_e32 vcc_lo, 32, v7
	v_cndmask_b32_e32 v7, v6, v7, vcc_lo
	v_cmp_gt_i32_e32 vcc_lo, 32, v11
	v_lshlrev_b32_e32 v7, 2, v7
	v_cndmask_b32_e32 v11, v6, v11, vcc_lo
	v_cmp_gt_i32_e32 vcc_lo, 32, v12
	ds_bpermute_b32 v10, v7, v9
	v_lshlrev_b32_e32 v11, 2, v11
	v_cndmask_b32_e32 v12, v6, v12, vcc_lo
	v_cmp_gt_i32_e32 vcc_lo, 32, v13
	v_lshlrev_b32_e32 v12, 2, v12
	v_cndmask_b32_e32 v13, v6, v13, vcc_lo
	v_cmp_gt_i32_e32 vcc_lo, 32, v14
	v_lshlrev_b32_e32 v13, 2, v13
	v_cndmask_b32_e32 v6, v6, v14, vcc_lo
	v_lshlrev_b32_e32 v6, 2, v6
	s_waitcnt lgkmcnt(0)
	v_max_f32_e32 v10, v10, v10
	v_max_f32_e32 v9, v9, v10
	ds_bpermute_b32 v10, v11, v9
	s_waitcnt lgkmcnt(0)
	v_max_f32_e32 v10, v10, v10
	v_max_f32_e32 v9, v9, v10
	ds_bpermute_b32 v10, v12, v9
	;; [unrolled: 4-line block ×4, first 2 shown]
	s_waitcnt lgkmcnt(0)
	v_max_f32_e32 v10, v10, v10
	v_max_f32_e32 v9, v9, v10
	v_sub_f32_e32 v10, v4, v9
	v_sub_f32_e32 v9, v5, v9
	v_mul_f32_e32 v14, 0x3fb8aa3b, v10
	v_mul_f32_e32 v15, 0x3fb8aa3b, v9
	v_cmp_ngt_f32_e32 vcc_lo, 0xc2ce8ed0, v10
	v_fma_f32 v16, 0x3fb8aa3b, v10, -v14
	v_rndne_f32_e32 v17, v14
	v_fma_f32 v18, 0x3fb8aa3b, v9, -v15
	v_rndne_f32_e32 v19, v15
	v_fmac_f32_e32 v16, 0x32a5705f, v10
	v_sub_f32_e32 v14, v14, v17
	v_fmac_f32_e32 v18, 0x32a5705f, v9
	v_sub_f32_e32 v15, v15, v19
	v_add_f32_e32 v14, v14, v16
	v_cvt_i32_f32_e32 v16, v17
	v_add_f32_e32 v15, v15, v18
	v_cvt_i32_f32_e32 v17, v19
	v_exp_f32_e32 v14, v14
	v_exp_f32_e32 v15, v15
	v_ldexp_f32 v14, v14, v16
	v_ldexp_f32 v15, v15, v17
	v_cndmask_b32_e32 v14, 0, v14, vcc_lo
	v_cmp_ngt_f32_e32 vcc_lo, 0xc2ce8ed0, v9
	v_cndmask_b32_e32 v15, 0, v15, vcc_lo
	v_cmp_nlt_f32_e32 vcc_lo, 0x42b17218, v10
	v_cndmask_b32_e32 v10, 0x7f800000, v14, vcc_lo
	v_cmp_nlt_f32_e32 vcc_lo, 0x42b17218, v9
	v_cndmask_b32_e32 v9, 0x7f800000, v15, vcc_lo
	v_add_f32_e32 v14, v10, v9
	ds_bpermute_b32 v7, v7, v14
	s_waitcnt lgkmcnt(0)
	v_add_f32_e32 v7, v14, v7
	ds_bpermute_b32 v11, v11, v7
	s_waitcnt lgkmcnt(0)
	;; [unrolled: 3-line block ×5, first 2 shown]
	v_add_f32_e32 v6, v7, v6
	v_div_scale_f32 v7, null, v6, v6, 1.0
	v_div_scale_f32 v13, vcc_lo, 1.0, v6, 1.0
	v_rcp_f32_e32 v11, v7
	v_fma_f32 v12, -v7, v11, 1.0
	v_fmac_f32_e32 v11, v12, v11
	v_mul_f32_e32 v12, v13, v11
	v_fma_f32 v14, -v7, v12, v13
	v_fmac_f32_e32 v12, v14, v11
	v_fma_f32 v7, -v7, v12, v13
	v_div_fmas_f32 v7, v7, v11, v12
	v_div_fixup_f32 v7, v7, v6, 1.0
	v_mul_f32_e32 v6, v10, v7
	v_mul_f32_e32 v7, v9, v7
	s_andn2_b32 vcc_lo, exec_lo, s0
	s_cbranch_vccz .LBB17_7
	s_branch .LBB17_8
.LBB17_4:
	s_waitcnt vmcnt(1)
	v_mov_b32_e32 v6, v4
	s_lshr_b32 s0, s4, 8
	s_cmp_gt_i32 s9, 0
	s_mov_b32 s5, 0
	s_cbranch_scc0 .LBB17_9
.LBB17_5:
	s_mov_b32 s5, -1
                                        ; implicit-def: $sgpr4
	s_branch .LBB17_10
.LBB17_6:
                                        ; implicit-def: $vgpr6
.LBB17_7:
	s_waitcnt vmcnt(1)
	v_mul_f32_e32 v6, 0xbfb8aa3b, v4
	s_waitcnt vmcnt(0)
	v_mul_f32_e32 v7, 0xbfb8aa3b, v5
	v_cmp_nlt_f32_e32 vcc_lo, 0x42ce8ed0, v4
	v_rndne_f32_e32 v9, v6
	v_fma_f32 v10, 0xbfb8aa3b, v4, -v6
	v_rndne_f32_e32 v11, v7
	v_fma_f32 v12, 0xbfb8aa3b, v5, -v7
	v_sub_f32_e32 v6, v6, v9
	v_fmac_f32_e32 v10, 0xb2a5705f, v4
	v_sub_f32_e32 v7, v7, v11
	v_fmac_f32_e32 v12, 0xb2a5705f, v5
	v_cvt_i32_f32_e32 v9, v9
	v_add_f32_e32 v6, v6, v10
	v_cvt_i32_f32_e32 v10, v11
	v_add_f32_e32 v7, v7, v12
	v_exp_f32_e32 v6, v6
	v_exp_f32_e32 v7, v7
	v_ldexp_f32 v6, v6, v9
	v_ldexp_f32 v7, v7, v10
	v_cndmask_b32_e32 v6, 0, v6, vcc_lo
	v_cmp_nlt_f32_e32 vcc_lo, 0x42ce8ed0, v5
	v_cndmask_b32_e32 v7, 0, v7, vcc_lo
	v_cmp_ngt_f32_e32 vcc_lo, 0xc2b17218, v4
	v_cndmask_b32_e32 v4, 0x7f800000, v6, vcc_lo
	v_cmp_ngt_f32_e32 vcc_lo, 0xc2b17218, v5
	v_add_f32_e32 v4, 1.0, v4
	v_cndmask_b32_e32 v5, 0x7f800000, v7, vcc_lo
	v_div_scale_f32 v6, null, v4, v4, 1.0
	v_add_f32_e32 v5, 1.0, v5
	v_div_scale_f32 v13, vcc_lo, 1.0, v4, 1.0
	v_rcp_f32_e32 v9, v6
	v_div_scale_f32 v7, null, v5, v5, 1.0
	v_rcp_f32_e32 v10, v7
	v_fma_f32 v11, -v6, v9, 1.0
	v_fmac_f32_e32 v9, v11, v9
	v_div_scale_f32 v11, s0, 1.0, v5, 1.0
	v_fma_f32 v12, -v7, v10, 1.0
	v_fmac_f32_e32 v10, v12, v10
	v_mul_f32_e32 v12, v13, v9
	v_mul_f32_e32 v14, v11, v10
	v_fma_f32 v15, -v6, v12, v13
	v_fma_f32 v16, -v7, v14, v11
	v_fmac_f32_e32 v12, v15, v9
	v_fmac_f32_e32 v14, v16, v10
	v_fma_f32 v6, -v6, v12, v13
	v_fma_f32 v7, -v7, v14, v11
	v_div_fmas_f32 v6, v6, v9, v12
	s_mov_b32 vcc_lo, s0
	v_div_fmas_f32 v7, v7, v10, v14
	v_div_fixup_f32 v6, v6, v4, 1.0
	v_div_fixup_f32 v7, v7, v5, 1.0
.LBB17_8:
	s_waitcnt vmcnt(0)
	v_mov_b32_e32 v4, v6
	v_mov_b32_e32 v5, v7
	s_lshr_b32 s0, s4, 8
	s_cmp_gt_i32 s9, 0
	s_mov_b32 s5, 0
	s_cbranch_scc1 .LBB17_5
.LBB17_9:
	s_bitcmp1_b32 s0, 0
	s_cselect_b32 s4, -1, 0
.LBB17_10:
	v_add_nc_u32_e32 v7, 32, v0
	v_mov_b32_e32 v9, 0
	v_mbcnt_lo_u32_b32 v10, -1, 0
	v_mov_b32_e32 v11, 0
	v_mov_b32_e32 v12, 0
	s_andn2_b32 vcc_lo, exec_lo, s5
	s_cbranch_vccnz .LBB17_37
; %bb.11:
	v_add_co_u32 v2, vcc_lo, s6, v2
	v_add_co_ci_u32_e64 v3, null, s7, v3, vcc_lo
	v_cmp_u_f32_e32 vcc_lo, v6, v6
	v_xor_b32_e32 v9, 16, v10
	v_xor_b32_e32 v6, 8, v10
	v_xor_b32_e32 v11, 4, v10
	v_xor_b32_e32 v12, 2, v10
	v_cndmask_b32_e64 v4, v4, 0xff7fffff, vcc_lo
	s_waitcnt vmcnt(0)
	v_cmp_o_f32_e32 vcc_lo, v5, v5
	s_bitcmp1_b32 s0, 0
	s_mov_b32 s5, 0
	s_cselect_b32 s4, -1, 0
	v_cndmask_b32_e32 v5, 0xff7fffff, v5, vcc_lo
	v_cmp_gt_i32_e32 vcc_lo, 32, v9
	v_cndmask_b32_e32 v9, v10, v9, vcc_lo
	v_cmp_gt_i32_e32 vcc_lo, 32, v6
	;; [unrolled: 2-line block ×3, first 2 shown]
	v_xor_b32_e32 v6, 1, v10
	v_lshlrev_b32_e32 v13, 2, v13
	v_cndmask_b32_e32 v11, v10, v11, vcc_lo
	v_cmp_gt_i32_e32 vcc_lo, 32, v12
	v_lshlrev_b32_e32 v14, 2, v11
	v_cndmask_b32_e32 v12, v10, v12, vcc_lo
	v_cmp_gt_i32_e32 vcc_lo, 32, v6
	v_mov_b32_e32 v11, 0
	v_lshlrev_b32_e32 v15, 2, v12
	v_cndmask_b32_e32 v16, v10, v6, vcc_lo
	v_lshlrev_b32_e32 v6, 2, v9
	v_mov_b32_e32 v12, 0
	v_mov_b32_e32 v9, 0
	v_lshlrev_b32_e32 v16, 2, v16
	s_branch .LBB17_13
.LBB17_12:                              ;   in Loop: Header=BB17_13 Depth=1
	s_or_b32 exec_lo, exec_lo, s0
	s_lshr_b32 s0, s5, 5
	s_and_b32 s6, s5, 31
	s_cmp_eq_u32 s0, 1
	s_cselect_b32 vcc_lo, -1, 0
	s_cmp_eq_u32 s0, 0
	v_cndmask_b32_e32 v18, v9, v17, vcc_lo
	s_cselect_b32 vcc_lo, -1, 0
	s_add_i32 s5, s5, 1
	v_cndmask_b32_e32 v17, v11, v17, vcc_lo
	v_cmp_eq_u32_e32 vcc_lo, s6, v0
	s_cmp_eq_u32 s9, s5
	v_cndmask_b32_e32 v11, v11, v17, vcc_lo
	v_cndmask_b32_e32 v9, v9, v18, vcc_lo
	v_add_co_u32 v2, vcc_lo, v2, 4
	v_add_co_ci_u32_e64 v3, null, 0, v3, vcc_lo
	s_cbranch_scc1 .LBB17_37
.LBB17_13:                              ; =>This Inner Loop Header: Depth=1
	v_cmp_gt_f32_e32 vcc_lo, v5, v4
	s_mov_b32 s7, exec_lo
	v_cndmask_b32_e32 v17, v4, v5, vcc_lo
	v_cndmask_b32_e32 v18, v0, v7, vcc_lo
	ds_bpermute_b32 v19, v6, v17
	s_waitcnt lgkmcnt(1)
	ds_bpermute_b32 v20, v6, v18
	s_waitcnt lgkmcnt(1)
	v_cmp_lt_f32_e64 s6, v17, v19
	v_cmpx_nlt_f32_e32 v17, v19
	s_cbranch_execz .LBB17_15
; %bb.14:                               ;   in Loop: Header=BB17_13 Depth=1
	v_cmp_eq_f32_e32 vcc_lo, v17, v19
	s_waitcnt lgkmcnt(0)
	v_cmp_lt_i32_e64 s0, v20, v18
	s_andn2_b32 s6, s6, exec_lo
	s_and_b32 s0, vcc_lo, s0
	s_and_b32 s0, s0, exec_lo
	s_or_b32 s6, s6, s0
.LBB17_15:                              ;   in Loop: Header=BB17_13 Depth=1
	s_or_b32 exec_lo, exec_lo, s7
	s_and_saveexec_b32 s0, s6
	s_cbranch_execz .LBB17_17
; %bb.16:                               ;   in Loop: Header=BB17_13 Depth=1
	v_mov_b32_e32 v17, v19
	s_waitcnt lgkmcnt(0)
	v_mov_b32_e32 v18, v20
.LBB17_17:                              ;   in Loop: Header=BB17_13 Depth=1
	s_or_b32 exec_lo, exec_lo, s0
	s_waitcnt lgkmcnt(0)
	ds_bpermute_b32 v20, v13, v17
	ds_bpermute_b32 v19, v13, v18
	s_mov_b32 s7, exec_lo
	s_waitcnt lgkmcnt(1)
	v_cmp_lt_f32_e64 s6, v17, v20
	v_cmpx_nlt_f32_e32 v17, v20
	s_cbranch_execz .LBB17_19
; %bb.18:                               ;   in Loop: Header=BB17_13 Depth=1
	v_cmp_eq_f32_e32 vcc_lo, v17, v20
	s_waitcnt lgkmcnt(0)
	v_cmp_lt_i32_e64 s0, v19, v18
	s_andn2_b32 s6, s6, exec_lo
	s_and_b32 s0, vcc_lo, s0
	s_and_b32 s0, s0, exec_lo
	s_or_b32 s6, s6, s0
.LBB17_19:                              ;   in Loop: Header=BB17_13 Depth=1
	s_or_b32 exec_lo, exec_lo, s7
	s_and_saveexec_b32 s0, s6
	s_cbranch_execz .LBB17_21
; %bb.20:                               ;   in Loop: Header=BB17_13 Depth=1
	v_mov_b32_e32 v17, v20
	s_waitcnt lgkmcnt(0)
	v_mov_b32_e32 v18, v19
.LBB17_21:                              ;   in Loop: Header=BB17_13 Depth=1
	s_or_b32 exec_lo, exec_lo, s0
	ds_bpermute_b32 v20, v14, v17
	s_waitcnt lgkmcnt(1)
	ds_bpermute_b32 v19, v14, v18
	s_mov_b32 s7, exec_lo
	s_waitcnt lgkmcnt(1)
	v_cmp_lt_f32_e64 s6, v17, v20
	v_cmpx_nlt_f32_e32 v17, v20
	s_cbranch_execz .LBB17_23
; %bb.22:                               ;   in Loop: Header=BB17_13 Depth=1
	v_cmp_eq_f32_e32 vcc_lo, v17, v20
	s_waitcnt lgkmcnt(0)
	v_cmp_lt_i32_e64 s0, v19, v18
	s_andn2_b32 s6, s6, exec_lo
	s_and_b32 s0, vcc_lo, s0
	s_and_b32 s0, s0, exec_lo
	s_or_b32 s6, s6, s0
.LBB17_23:                              ;   in Loop: Header=BB17_13 Depth=1
	s_or_b32 exec_lo, exec_lo, s7
	s_and_saveexec_b32 s0, s6
	s_cbranch_execz .LBB17_25
; %bb.24:                               ;   in Loop: Header=BB17_13 Depth=1
	v_mov_b32_e32 v17, v20
	s_waitcnt lgkmcnt(0)
	v_mov_b32_e32 v18, v19
.LBB17_25:                              ;   in Loop: Header=BB17_13 Depth=1
	s_or_b32 exec_lo, exec_lo, s0
	ds_bpermute_b32 v20, v15, v17
	s_waitcnt lgkmcnt(1)
	ds_bpermute_b32 v19, v15, v18
	s_mov_b32 s7, exec_lo
	s_waitcnt lgkmcnt(1)
	v_cmp_lt_f32_e64 s6, v17, v20
	v_cmpx_nlt_f32_e32 v17, v20
	s_cbranch_execz .LBB17_27
; %bb.26:                               ;   in Loop: Header=BB17_13 Depth=1
	v_cmp_eq_f32_e32 vcc_lo, v17, v20
	s_waitcnt lgkmcnt(0)
	v_cmp_lt_i32_e64 s0, v19, v18
	s_andn2_b32 s6, s6, exec_lo
	s_and_b32 s0, vcc_lo, s0
	s_and_b32 s0, s0, exec_lo
	s_or_b32 s6, s6, s0
.LBB17_27:                              ;   in Loop: Header=BB17_13 Depth=1
	s_or_b32 exec_lo, exec_lo, s7
	s_and_saveexec_b32 s0, s6
	s_cbranch_execz .LBB17_29
; %bb.28:                               ;   in Loop: Header=BB17_13 Depth=1
	v_mov_b32_e32 v17, v20
	s_waitcnt lgkmcnt(0)
	v_mov_b32_e32 v18, v19
.LBB17_29:                              ;   in Loop: Header=BB17_13 Depth=1
	s_or_b32 exec_lo, exec_lo, s0
	s_waitcnt lgkmcnt(0)
	ds_bpermute_b32 v19, v16, v17
	ds_bpermute_b32 v20, v16, v18
	s_mov_b32 s7, exec_lo
	s_waitcnt lgkmcnt(1)
	v_cmp_lt_f32_e64 s6, v17, v19
	v_cmpx_nlt_f32_e32 v17, v19
	s_cbranch_execz .LBB17_31
; %bb.30:                               ;   in Loop: Header=BB17_13 Depth=1
	v_cmp_eq_f32_e32 vcc_lo, v17, v19
	s_waitcnt lgkmcnt(0)
	v_cmp_lt_i32_e64 s0, v20, v18
	s_andn2_b32 s6, s6, exec_lo
	s_and_b32 s0, vcc_lo, s0
	s_and_b32 s0, s0, exec_lo
	s_or_b32 s6, s6, s0
.LBB17_31:                              ;   in Loop: Header=BB17_13 Depth=1
	s_or_b32 exec_lo, exec_lo, s7
	s_and_saveexec_b32 s0, s6
	s_cbranch_execz .LBB17_33
; %bb.32:                               ;   in Loop: Header=BB17_13 Depth=1
	v_mov_b32_e32 v17, v19
	s_waitcnt lgkmcnt(0)
	v_mov_b32_e32 v18, v20
.LBB17_33:                              ;   in Loop: Header=BB17_13 Depth=1
	s_or_b32 exec_lo, exec_lo, s0
	v_and_b32_e32 v19, 31, v18
	v_cmp_eq_u32_e32 vcc_lo, v19, v0
	s_and_saveexec_b32 s6, vcc_lo
	s_cbranch_execz .LBB17_35
; %bb.34:                               ;   in Loop: Header=BB17_13 Depth=1
	v_ashrrev_i32_e32 v19, 31, v18
	v_lshrrev_b32_e32 v19, 27, v19
	v_add_nc_u32_e32 v19, v18, v19
	v_ashrrev_i32_e32 v19, 5, v19
	v_cmp_ne_u32_e64 s0, 1, v19
	v_cndmask_b32_e64 v5, 0xff800000, v5, s0
	v_cmp_ne_u32_e64 s0, 0, v19
	v_cndmask_b32_e64 v4, 0xff800000, v4, s0
.LBB17_35:                              ;   in Loop: Header=BB17_13 Depth=1
	s_or_b32 exec_lo, exec_lo, s6
	s_and_saveexec_b32 s0, vcc_lo
	s_cbranch_execz .LBB17_12
; %bb.36:                               ;   in Loop: Header=BB17_13 Depth=1
	v_add_f32_e32 v19, v12, v17
	global_store_dword v[2:3], v18, off
	v_cndmask_b32_e64 v12, v12, v19, s4
	s_branch .LBB17_12
.LBB17_37:
	s_and_b32 vcc_lo, exec_lo, s4
	s_cbranch_vccz .LBB17_39
; %bb.38:
	v_xor_b32_e32 v2, 16, v10
	v_xor_b32_e32 v3, 8, v10
	;; [unrolled: 1-line block ×3, first 2 shown]
	v_cmp_gt_i32_e32 vcc_lo, 32, v2
	v_cndmask_b32_e32 v2, v10, v2, vcc_lo
	v_cmp_gt_i32_e32 vcc_lo, 32, v3
	v_lshlrev_b32_e32 v2, 2, v2
	v_cndmask_b32_e32 v3, v10, v3, vcc_lo
	v_cmp_gt_i32_e32 vcc_lo, 32, v4
	ds_bpermute_b32 v2, v2, v12
	v_lshlrev_b32_e32 v3, 2, v3
	v_cndmask_b32_e32 v4, v10, v4, vcc_lo
	v_lshlrev_b32_e32 v4, 2, v4
	s_waitcnt lgkmcnt(0)
	v_add_f32_e32 v2, v12, v2
	ds_bpermute_b32 v3, v3, v2
	s_waitcnt lgkmcnt(0)
	v_add_f32_e32 v2, v2, v3
	ds_bpermute_b32 v3, v4, v2
	v_xor_b32_e32 v4, 2, v10
	v_cmp_gt_i32_e32 vcc_lo, 32, v4
	v_cndmask_b32_e32 v4, v10, v4, vcc_lo
	v_lshlrev_b32_e32 v4, 2, v4
	s_waitcnt lgkmcnt(0)
	v_add_f32_e32 v2, v2, v3
	ds_bpermute_b32 v3, v4, v2
	v_xor_b32_e32 v4, 1, v10
	v_cmp_gt_i32_e32 vcc_lo, 32, v4
	v_cndmask_b32_e32 v4, v10, v4, vcc_lo
	v_lshlrev_b32_e32 v4, 2, v4
	s_waitcnt lgkmcnt(0)
	v_add_f32_e32 v2, v2, v3
	ds_bpermute_b32 v3, v4, v2
	v_max_f32_e64 v4, s10, s10
	s_waitcnt lgkmcnt(0)
	v_add_f32_e32 v2, v2, v3
	v_max_f32_e32 v2, v2, v4
	v_div_scale_f32 v3, null, v2, v2, 1.0
	v_div_scale_f32 v6, vcc_lo, 1.0, v2, 1.0
	v_rcp_f32_e32 v4, v3
	s_waitcnt vmcnt(0)
	v_fma_f32 v5, -v3, v4, 1.0
	v_fmac_f32_e32 v4, v5, v4
	v_mul_f32_e32 v5, v6, v4
	v_fma_f32 v12, -v3, v5, v6
	v_fmac_f32_e32 v5, v12, v4
	v_fma_f32 v3, -v3, v5, v6
	v_div_fmas_f32 v3, v3, v4, v5
	v_div_fixup_f32 v2, v3, v2, 1.0
	v_mul_f32_e32 v11, v2, v11
	v_mul_f32_e32 v9, v2, v9
.LBB17_39:
	v_cmp_gt_i32_e64 s0, s9, v7
	s_andn2_b32 vcc_lo, exec_lo, s1
	s_cbranch_vccnz .LBB17_41
; %bb.40:
	v_max_f32_e32 v2, v11, v11
	v_xor_b32_e32 v4, 16, v10
	v_cmp_gt_i32_e64 s1, s9, v0
	v_max_f32_e32 v3, v9, v9
	s_waitcnt vmcnt(0)
	v_xor_b32_e32 v5, 8, v10
	v_max_f32_e32 v2, 0xff800000, v2
	v_cmp_gt_i32_e32 vcc_lo, 32, v4
	v_xor_b32_e32 v6, 4, v10
	v_xor_b32_e32 v12, 2, v10
	;; [unrolled: 1-line block ×3, first 2 shown]
	v_cndmask_b32_e64 v2, 0xff800000, v2, s1
	v_cndmask_b32_e32 v4, v10, v4, vcc_lo
	v_cmp_gt_i32_e32 vcc_lo, 32, v5
	v_max_f32_e32 v3, v2, v3
	v_lshlrev_b32_e32 v4, 2, v4
	v_cndmask_b32_e32 v5, v10, v5, vcc_lo
	v_cmp_gt_i32_e32 vcc_lo, 32, v6
	v_cndmask_b32_e64 v2, v2, v3, s0
	v_lshlrev_b32_e32 v5, 2, v5
	v_cndmask_b32_e32 v6, v10, v6, vcc_lo
	v_cmp_gt_i32_e32 vcc_lo, 32, v12
	ds_bpermute_b32 v3, v4, v2
	v_lshlrev_b32_e32 v6, 2, v6
	v_cndmask_b32_e32 v12, v10, v12, vcc_lo
	v_cmp_gt_i32_e32 vcc_lo, 32, v13
	v_lshlrev_b32_e32 v12, 2, v12
	v_cndmask_b32_e32 v10, v10, v13, vcc_lo
	v_lshlrev_b32_e32 v10, 2, v10
	s_waitcnt lgkmcnt(0)
	v_max_f32_e32 v3, v3, v3
	v_max_f32_e32 v2, v2, v3
	ds_bpermute_b32 v3, v5, v2
	s_waitcnt lgkmcnt(0)
	v_max_f32_e32 v3, v3, v3
	v_max_f32_e32 v2, v2, v3
	ds_bpermute_b32 v3, v6, v2
	;; [unrolled: 4-line block ×4, first 2 shown]
	s_waitcnt lgkmcnt(0)
	v_max_f32_e32 v3, v3, v3
	v_max_f32_e32 v2, v2, v3
	v_sub_f32_e32 v3, v11, v2
	v_sub_f32_e32 v2, v9, v2
	v_mul_f32_e32 v9, 0x3fb8aa3b, v3
	v_mul_f32_e32 v11, 0x3fb8aa3b, v2
	v_cmp_ngt_f32_e32 vcc_lo, 0xc2ce8ed0, v3
	v_fma_f32 v13, 0x3fb8aa3b, v3, -v9
	v_rndne_f32_e32 v14, v9
	v_fma_f32 v15, 0x3fb8aa3b, v2, -v11
	v_rndne_f32_e32 v16, v11
	v_fmac_f32_e32 v13, 0x32a5705f, v3
	v_sub_f32_e32 v9, v9, v14
	v_fmac_f32_e32 v15, 0x32a5705f, v2
	v_sub_f32_e32 v11, v11, v16
	v_add_f32_e32 v9, v9, v13
	v_cvt_i32_f32_e32 v13, v14
	v_add_f32_e32 v11, v11, v15
	v_cvt_i32_f32_e32 v14, v16
	v_exp_f32_e32 v9, v9
	v_exp_f32_e32 v11, v11
	v_ldexp_f32 v9, v9, v13
	v_ldexp_f32 v11, v11, v14
	v_cndmask_b32_e32 v9, 0, v9, vcc_lo
	v_cmp_ngt_f32_e32 vcc_lo, 0xc2ce8ed0, v2
	v_cndmask_b32_e32 v11, 0, v11, vcc_lo
	v_cmp_nlt_f32_e32 vcc_lo, 0x42b17218, v3
	v_cndmask_b32_e32 v3, 0x7f800000, v9, vcc_lo
	v_cmp_nlt_f32_e32 vcc_lo, 0x42b17218, v2
	v_cndmask_b32_e64 v3, 0, v3, s1
	v_cndmask_b32_e32 v2, 0x7f800000, v11, vcc_lo
	v_add_f32_e32 v9, v2, v3
	v_cndmask_b32_e64 v2, 0, v2, s0
	v_cndmask_b32_e64 v9, v3, v9, s0
	ds_bpermute_b32 v4, v4, v9
	s_waitcnt lgkmcnt(0)
	v_add_f32_e32 v4, v9, v4
	ds_bpermute_b32 v5, v5, v4
	s_waitcnt lgkmcnt(0)
	v_add_f32_e32 v4, v4, v5
	;; [unrolled: 3-line block ×5, first 2 shown]
	v_div_scale_f32 v5, null, v4, v4, 1.0
	v_div_scale_f32 v10, vcc_lo, 1.0, v4, 1.0
	v_rcp_f32_e32 v6, v5
	v_fma_f32 v9, -v5, v6, 1.0
	v_fmac_f32_e32 v6, v9, v6
	v_mul_f32_e32 v9, v10, v6
	v_fma_f32 v11, -v5, v9, v10
	v_fmac_f32_e32 v9, v11, v6
	v_fma_f32 v5, -v5, v9, v10
	v_div_fmas_f32 v5, v5, v6, v9
	v_div_fixup_f32 v4, v5, v4, 1.0
	v_mul_f32_e32 v5, v3, v4
	v_mul_f32_e32 v4, v2, v4
	v_cndmask_b32_e64 v11, v3, v5, s1
	v_cndmask_b32_e64 v9, v2, v4, s0
.LBB17_41:
	v_mul_lo_u32 v1, v1, s9
	s_mov_b32 s0, exec_lo
	v_ashrrev_i32_e32 v2, 31, v1
	v_lshlrev_b64 v[1:2], 2, v[1:2]
	v_add_co_u32 v1, vcc_lo, s2, v1
	v_add_co_ci_u32_e64 v2, null, s3, v2, vcc_lo
	v_cmpx_gt_i32_e64 s9, v0
	s_cbranch_execz .LBB17_43
; %bb.42:
	v_add_co_u32 v3, vcc_lo, v1, v8
	v_add_co_ci_u32_e64 v4, null, 0, v2, vcc_lo
	v_mul_f32_e32 v0, s11, v11
	global_store_dword v[3:4], v0, off
.LBB17_43:
	s_or_b32 exec_lo, exec_lo, s0
	v_cmp_gt_i32_e32 vcc_lo, s9, v7
	s_and_b32 exec_lo, exec_lo, vcc_lo
	s_cbranch_execz .LBB17_45
; %bb.44:
	v_add_co_u32 v0, vcc_lo, v1, v8
	v_add_co_ci_u32_e64 v1, null, 0, v2, vcc_lo
	v_mul_f32_e32 v2, s11, v9
	global_store_dword v[0:1], v2, off offset:128
.LBB17_45:
	s_endpgm
	.section	.rodata,"a",@progbits
	.p2align	6, 0x0
	.amdhsa_kernel _Z13topk_moe_cudaILi64ELb0EEvPKfPfPiS2_iiff15topk_moe_config
		.amdhsa_group_segment_fixed_size 0
		.amdhsa_private_segment_fixed_size 0
		.amdhsa_kernarg_size 312
		.amdhsa_user_sgpr_count 6
		.amdhsa_user_sgpr_private_segment_buffer 1
		.amdhsa_user_sgpr_dispatch_ptr 0
		.amdhsa_user_sgpr_queue_ptr 0
		.amdhsa_user_sgpr_kernarg_segment_ptr 1
		.amdhsa_user_sgpr_dispatch_id 0
		.amdhsa_user_sgpr_flat_scratch_init 0
		.amdhsa_user_sgpr_private_segment_size 0
		.amdhsa_wavefront_size32 1
		.amdhsa_uses_dynamic_stack 0
		.amdhsa_system_sgpr_private_segment_wavefront_offset 0
		.amdhsa_system_sgpr_workgroup_id_x 1
		.amdhsa_system_sgpr_workgroup_id_y 0
		.amdhsa_system_sgpr_workgroup_id_z 0
		.amdhsa_system_sgpr_workgroup_info 0
		.amdhsa_system_vgpr_workitem_id 1
		.amdhsa_next_free_vgpr 21
		.amdhsa_next_free_sgpr 12
		.amdhsa_reserve_vcc 1
		.amdhsa_reserve_flat_scratch 0
		.amdhsa_float_round_mode_32 0
		.amdhsa_float_round_mode_16_64 0
		.amdhsa_float_denorm_mode_32 3
		.amdhsa_float_denorm_mode_16_64 3
		.amdhsa_dx10_clamp 1
		.amdhsa_ieee_mode 1
		.amdhsa_fp16_overflow 0
		.amdhsa_workgroup_processor_mode 1
		.amdhsa_memory_ordered 1
		.amdhsa_forward_progress 1
		.amdhsa_shared_vgpr_count 0
		.amdhsa_exception_fp_ieee_invalid_op 0
		.amdhsa_exception_fp_denorm_src 0
		.amdhsa_exception_fp_ieee_div_zero 0
		.amdhsa_exception_fp_ieee_overflow 0
		.amdhsa_exception_fp_ieee_underflow 0
		.amdhsa_exception_fp_ieee_inexact 0
		.amdhsa_exception_int_div_zero 0
	.end_amdhsa_kernel
	.section	.text._Z13topk_moe_cudaILi64ELb0EEvPKfPfPiS2_iiff15topk_moe_config,"axG",@progbits,_Z13topk_moe_cudaILi64ELb0EEvPKfPfPiS2_iiff15topk_moe_config,comdat
.Lfunc_end17:
	.size	_Z13topk_moe_cudaILi64ELb0EEvPKfPfPiS2_iiff15topk_moe_config, .Lfunc_end17-_Z13topk_moe_cudaILi64ELb0EEvPKfPfPiS2_iiff15topk_moe_config
                                        ; -- End function
	.set _Z13topk_moe_cudaILi64ELb0EEvPKfPfPiS2_iiff15topk_moe_config.num_vgpr, 21
	.set _Z13topk_moe_cudaILi64ELb0EEvPKfPfPiS2_iiff15topk_moe_config.num_agpr, 0
	.set _Z13topk_moe_cudaILi64ELb0EEvPKfPfPiS2_iiff15topk_moe_config.numbered_sgpr, 12
	.set _Z13topk_moe_cudaILi64ELb0EEvPKfPfPiS2_iiff15topk_moe_config.num_named_barrier, 0
	.set _Z13topk_moe_cudaILi64ELb0EEvPKfPfPiS2_iiff15topk_moe_config.private_seg_size, 0
	.set _Z13topk_moe_cudaILi64ELb0EEvPKfPfPiS2_iiff15topk_moe_config.uses_vcc, 1
	.set _Z13topk_moe_cudaILi64ELb0EEvPKfPfPiS2_iiff15topk_moe_config.uses_flat_scratch, 0
	.set _Z13topk_moe_cudaILi64ELb0EEvPKfPfPiS2_iiff15topk_moe_config.has_dyn_sized_stack, 0
	.set _Z13topk_moe_cudaILi64ELb0EEvPKfPfPiS2_iiff15topk_moe_config.has_recursion, 0
	.set _Z13topk_moe_cudaILi64ELb0EEvPKfPfPiS2_iiff15topk_moe_config.has_indirect_call, 0
	.section	.AMDGPU.csdata,"",@progbits
; Kernel info:
; codeLenInByte = 3096
; TotalNumSgprs: 14
; NumVgprs: 21
; ScratchSize: 0
; MemoryBound: 0
; FloatMode: 240
; IeeeMode: 1
; LDSByteSize: 0 bytes/workgroup (compile time only)
; SGPRBlocks: 0
; VGPRBlocks: 2
; NumSGPRsForWavesPerEU: 14
; NumVGPRsForWavesPerEU: 21
; Occupancy: 16
; WaveLimiterHint : 1
; COMPUTE_PGM_RSRC2:SCRATCH_EN: 0
; COMPUTE_PGM_RSRC2:USER_SGPR: 6
; COMPUTE_PGM_RSRC2:TRAP_HANDLER: 0
; COMPUTE_PGM_RSRC2:TGID_X_EN: 1
; COMPUTE_PGM_RSRC2:TGID_Y_EN: 0
; COMPUTE_PGM_RSRC2:TGID_Z_EN: 0
; COMPUTE_PGM_RSRC2:TIDIG_COMP_CNT: 1
	.section	.text._Z13topk_moe_cudaILi128ELb0EEvPKfPfPiS2_iiff15topk_moe_config,"axG",@progbits,_Z13topk_moe_cudaILi128ELb0EEvPKfPfPiS2_iiff15topk_moe_config,comdat
	.protected	_Z13topk_moe_cudaILi128ELb0EEvPKfPfPiS2_iiff15topk_moe_config ; -- Begin function _Z13topk_moe_cudaILi128ELb0EEvPKfPfPiS2_iiff15topk_moe_config
	.globl	_Z13topk_moe_cudaILi128ELb0EEvPKfPfPiS2_iiff15topk_moe_config
	.p2align	8
	.type	_Z13topk_moe_cudaILi128ELb0EEvPKfPfPiS2_iiff15topk_moe_config,@function
_Z13topk_moe_cudaILi128ELb0EEvPKfPfPiS2_iiff15topk_moe_config: ; @_Z13topk_moe_cudaILi128ELb0EEvPKfPfPiS2_iiff15topk_moe_config
; %bb.0:
	s_clause 0x1
	s_load_dword s0, s[4:5], 0x44
	s_load_dwordx4 s[8:11], s[4:5], 0x20
	s_waitcnt lgkmcnt(0)
	s_lshr_b32 s0, s0, 16
	v_mad_u64_u32 v[9:10], null, s6, s0, v[1:2]
	s_mov_b32 s0, exec_lo
	v_cmpx_gt_i32_e64 s8, v9
	s_cbranch_execz .LBB18_46
; %bb.1:
	s_load_dwordx4 s[12:15], s[4:5], 0x0
	v_lshlrev_b32_e32 v1, 7, v9
	v_mov_b32_e32 v3, 0
	v_lshlrev_b32_e32 v12, 2, v0
	s_clause 0x1
	s_load_dwordx2 s[6:7], s[4:5], 0x10
	s_load_dword s0, s[4:5], 0x30
	v_ashrrev_i32_e32 v2, 31, v1
	global_load_ushort v5, v3, s[4:5] offset:48
	v_lshlrev_b64 v[10:11], 2, v[1:2]
	s_waitcnt lgkmcnt(0)
	v_add_co_u32 v1, vcc_lo, s12, v10
	v_add_co_ci_u32_e64 v2, null, s13, v11, vcc_lo
	v_add_co_u32 v6, vcc_lo, v1, v12
	v_add_co_ci_u32_e64 v7, null, 0, v2, vcc_lo
	s_clause 0x3
	global_load_dword v1, v[6:7], off
	global_load_dword v2, v[6:7], off offset:128
	global_load_dword v3, v[6:7], off offset:256
	;; [unrolled: 1-line block ×3, first 2 shown]
	s_waitcnt vmcnt(4)
	v_readfirstlane_b32 s1, v5
	s_and_b32 s3, 0xffff, s1
	s_bitcmp1_b32 s0, 16
	s_cselect_b32 s4, -1, 0
	s_and_b32 vcc_lo, exec_lo, s4
	s_cbranch_vccnz .LBB18_4
; %bb.2:
	v_and_b32_e32 v5, 1, v5
	s_mov_b32 s0, 0
	v_cmp_eq_u32_e32 vcc_lo, 0, v5
	s_cbranch_vccz .LBB18_6
; %bb.3:
	v_mbcnt_lo_u32_b32 v5, -1, 0
	s_waitcnt vmcnt(2)
	v_max3_f32 v7, v1, 0xff800000, v2
	v_xor_b32_e32 v6, 16, v5
	s_waitcnt vmcnt(0)
	v_max3_f32 v7, v7, v3, v4
	v_xor_b32_e32 v13, 8, v5
	v_xor_b32_e32 v14, 4, v5
	;; [unrolled: 1-line block ×3, first 2 shown]
	v_cmp_gt_i32_e32 vcc_lo, 32, v6
	v_xor_b32_e32 v16, 1, v5
	v_cndmask_b32_e32 v6, v5, v6, vcc_lo
	v_cmp_gt_i32_e32 vcc_lo, 32, v13
	v_lshlrev_b32_e32 v6, 2, v6
	v_cndmask_b32_e32 v13, v5, v13, vcc_lo
	v_cmp_gt_i32_e32 vcc_lo, 32, v14
	ds_bpermute_b32 v8, v6, v7
	v_lshlrev_b32_e32 v13, 2, v13
	v_cndmask_b32_e32 v14, v5, v14, vcc_lo
	v_cmp_gt_i32_e32 vcc_lo, 32, v15
	v_lshlrev_b32_e32 v14, 2, v14
	v_cndmask_b32_e32 v15, v5, v15, vcc_lo
	v_cmp_gt_i32_e32 vcc_lo, 32, v16
	v_lshlrev_b32_e32 v15, 2, v15
	v_cndmask_b32_e32 v5, v5, v16, vcc_lo
	v_lshlrev_b32_e32 v5, 2, v5
	s_waitcnt lgkmcnt(0)
	v_max_f32_e32 v8, v8, v8
	v_max_f32_e32 v7, v7, v8
	ds_bpermute_b32 v8, v13, v7
	s_waitcnt lgkmcnt(0)
	v_max_f32_e32 v8, v8, v8
	v_max_f32_e32 v7, v7, v8
	ds_bpermute_b32 v8, v14, v7
	;; [unrolled: 4-line block ×4, first 2 shown]
	s_waitcnt lgkmcnt(0)
	v_max_f32_e32 v8, v8, v8
	v_max_f32_e32 v7, v7, v8
	v_sub_f32_e32 v8, v1, v7
	v_sub_f32_e32 v16, v2, v7
	;; [unrolled: 1-line block ×4, first 2 shown]
	v_mul_f32_e32 v18, 0x3fb8aa3b, v8
	v_mul_f32_e32 v19, 0x3fb8aa3b, v16
	v_mul_f32_e32 v20, 0x3fb8aa3b, v17
	v_mul_f32_e32 v21, 0x3fb8aa3b, v7
	v_cmp_ngt_f32_e32 vcc_lo, 0xc2ce8ed0, v8
	v_fma_f32 v22, 0x3fb8aa3b, v8, -v18
	v_rndne_f32_e32 v23, v18
	v_fma_f32 v24, 0x3fb8aa3b, v16, -v19
	v_rndne_f32_e32 v25, v19
	v_fma_f32 v26, 0x3fb8aa3b, v17, -v20
	v_fmac_f32_e32 v22, 0x32a5705f, v8
	v_sub_f32_e32 v18, v18, v23
	v_rndne_f32_e32 v27, v20
	v_fmac_f32_e32 v24, 0x32a5705f, v16
	v_sub_f32_e32 v19, v19, v25
	v_fmac_f32_e32 v26, 0x32a5705f, v17
	v_add_f32_e32 v18, v18, v22
	v_sub_f32_e32 v20, v20, v27
	v_cvt_i32_f32_e32 v22, v23
	v_add_f32_e32 v19, v19, v24
	v_fma_f32 v28, 0x3fb8aa3b, v7, -v21
	v_exp_f32_e32 v18, v18
	v_add_f32_e32 v20, v20, v26
	v_rndne_f32_e32 v29, v21
	v_exp_f32_e32 v19, v19
	v_cvt_i32_f32_e32 v23, v25
	v_fmac_f32_e32 v28, 0x32a5705f, v7
	v_exp_f32_e32 v20, v20
	v_sub_f32_e32 v21, v21, v29
	v_cvt_i32_f32_e32 v24, v27
	v_cvt_i32_f32_e32 v25, v29
	v_ldexp_f32 v18, v18, v22
	v_add_f32_e32 v21, v21, v28
	v_ldexp_f32 v19, v19, v23
	v_cndmask_b32_e32 v18, 0, v18, vcc_lo
	v_cmp_ngt_f32_e32 vcc_lo, 0xc2ce8ed0, v16
	v_ldexp_f32 v20, v20, v24
	v_exp_f32_e32 v21, v21
	v_cndmask_b32_e32 v19, 0, v19, vcc_lo
	v_cmp_ngt_f32_e32 vcc_lo, 0xc2ce8ed0, v17
	v_cndmask_b32_e32 v20, 0, v20, vcc_lo
	v_cmp_nlt_f32_e32 vcc_lo, 0x42b17218, v8
	v_ldexp_f32 v21, v21, v25
	v_cndmask_b32_e32 v8, 0x7f800000, v18, vcc_lo
	v_cmp_nlt_f32_e32 vcc_lo, 0x42b17218, v16
	v_cndmask_b32_e32 v16, 0x7f800000, v19, vcc_lo
	v_cmp_ngt_f32_e32 vcc_lo, 0xc2ce8ed0, v7
	v_add_f32_e32 v19, v8, v16
	v_cndmask_b32_e32 v18, 0, v21, vcc_lo
	v_cmp_nlt_f32_e32 vcc_lo, 0x42b17218, v17
	v_cndmask_b32_e32 v17, 0x7f800000, v20, vcc_lo
	v_cmp_nlt_f32_e32 vcc_lo, 0x42b17218, v7
	v_add_f32_e32 v7, v17, v19
	v_cndmask_b32_e32 v18, 0x7f800000, v18, vcc_lo
	v_add_f32_e32 v7, v18, v7
	ds_bpermute_b32 v6, v6, v7
	s_waitcnt lgkmcnt(0)
	v_add_f32_e32 v6, v7, v6
	ds_bpermute_b32 v7, v13, v6
	s_waitcnt lgkmcnt(0)
	;; [unrolled: 3-line block ×5, first 2 shown]
	v_add_f32_e32 v5, v6, v5
	v_div_scale_f32 v6, null, v5, v5, 1.0
	v_div_scale_f32 v14, vcc_lo, 1.0, v5, 1.0
	v_rcp_f32_e32 v7, v6
	v_fma_f32 v13, -v6, v7, 1.0
	v_fmac_f32_e32 v7, v13, v7
	v_mul_f32_e32 v13, v14, v7
	v_fma_f32 v15, -v6, v13, v14
	v_fmac_f32_e32 v13, v15, v7
	v_fma_f32 v6, -v6, v13, v14
	v_div_fmas_f32 v6, v6, v7, v13
	v_div_fixup_f32 v13, v6, v5, 1.0
	v_mul_f32_e32 v5, v8, v13
	v_mul_f32_e32 v6, v16, v13
	v_mul_f32_e32 v7, v17, v13
	v_mul_f32_e32 v8, v18, v13
	s_andn2_b32 vcc_lo, exec_lo, s0
	s_cbranch_vccz .LBB18_7
	s_branch .LBB18_8
.LBB18_4:
	s_waitcnt vmcnt(3)
	v_mov_b32_e32 v5, v1
	s_lshr_b32 s0, s3, 8
	s_cmp_gt_i32 s9, 0
	s_mov_b32 s1, 0
	s_cbranch_scc0 .LBB18_9
.LBB18_5:
	s_mov_b32 s1, -1
                                        ; implicit-def: $sgpr3
	s_branch .LBB18_10
.LBB18_6:
                                        ; implicit-def: $vgpr5
.LBB18_7:
	s_waitcnt vmcnt(3)
	v_mul_f32_e32 v5, 0xbfb8aa3b, v1
	s_waitcnt vmcnt(2)
	v_mul_f32_e32 v6, 0xbfb8aa3b, v2
	;; [unrolled: 2-line block ×4, first 2 shown]
	v_cmp_nlt_f32_e32 vcc_lo, 0x42ce8ed0, v1
	v_rndne_f32_e32 v13, v5
	v_fma_f32 v14, 0xbfb8aa3b, v1, -v5
	v_rndne_f32_e32 v15, v6
	v_fma_f32 v16, 0xbfb8aa3b, v2, -v6
	v_rndne_f32_e32 v17, v7
	v_sub_f32_e32 v5, v5, v13
	v_fmac_f32_e32 v14, 0xb2a5705f, v1
	v_fma_f32 v18, 0xbfb8aa3b, v3, -v7
	v_sub_f32_e32 v6, v6, v15
	v_fmac_f32_e32 v16, 0xb2a5705f, v2
	v_sub_f32_e32 v7, v7, v17
	v_add_f32_e32 v5, v5, v14
	v_fmac_f32_e32 v18, 0xb2a5705f, v3
	v_cvt_i32_f32_e32 v13, v13
	v_add_f32_e32 v6, v6, v16
	v_rndne_f32_e32 v19, v8
	v_exp_f32_e32 v5, v5
	v_add_f32_e32 v7, v7, v18
	v_fma_f32 v20, 0xbfb8aa3b, v4, -v8
	v_exp_f32_e32 v6, v6
	v_sub_f32_e32 v8, v8, v19
	v_cvt_i32_f32_e32 v14, v17
	v_exp_f32_e32 v7, v7
	v_fmac_f32_e32 v20, 0xb2a5705f, v4
	v_ldexp_f32 v5, v5, v13
	v_cvt_i32_f32_e32 v13, v15
	v_add_f32_e32 v8, v8, v20
	v_cvt_i32_f32_e32 v15, v19
	v_cndmask_b32_e32 v5, 0, v5, vcc_lo
	v_cmp_ngt_f32_e32 vcc_lo, 0xc2b17218, v1
	v_ldexp_f32 v6, v6, v13
	v_ldexp_f32 v7, v7, v14
	v_exp_f32_e32 v8, v8
	v_cndmask_b32_e32 v1, 0x7f800000, v5, vcc_lo
	v_cmp_nlt_f32_e32 vcc_lo, 0x42ce8ed0, v2
	v_add_f32_e32 v1, 1.0, v1
	v_cndmask_b32_e32 v5, 0, v6, vcc_lo
	v_cmp_nlt_f32_e32 vcc_lo, 0x42ce8ed0, v3
	v_ldexp_f32 v8, v8, v15
	v_cndmask_b32_e32 v6, 0, v7, vcc_lo
	v_cmp_ngt_f32_e32 vcc_lo, 0xc2b17218, v2
	v_cndmask_b32_e32 v2, 0x7f800000, v5, vcc_lo
	v_cmp_ngt_f32_e32 vcc_lo, 0xc2b17218, v3
	v_div_scale_f32 v5, null, v1, v1, 1.0
	v_add_f32_e32 v2, 1.0, v2
	v_cndmask_b32_e32 v3, 0x7f800000, v6, vcc_lo
	v_cmp_nlt_f32_e32 vcc_lo, 0x42ce8ed0, v4
	v_rcp_f32_e32 v7, v5
	v_div_scale_f32 v20, s0, 1.0, v2, 1.0
	v_cndmask_b32_e32 v6, 0, v8, vcc_lo
	v_cmp_ngt_f32_e32 vcc_lo, 0xc2b17218, v4
	v_add_f32_e32 v3, 1.0, v3
	v_div_scale_f32 v8, null, v2, v2, 1.0
	v_cndmask_b32_e32 v4, 0x7f800000, v6, vcc_lo
	v_div_scale_f32 v13, null, v3, v3, 1.0
	v_rcp_f32_e32 v6, v8
	v_fma_f32 v15, -v5, v7, 1.0
	v_add_f32_e32 v4, 1.0, v4
	v_rcp_f32_e32 v14, v13
	v_fmac_f32_e32 v7, v15, v7
	v_div_scale_f32 v16, null, v4, v4, 1.0
	v_div_scale_f32 v15, vcc_lo, 1.0, v1, 1.0
	v_fma_f32 v17, -v8, v6, 1.0
	v_rcp_f32_e32 v18, v16
	v_fma_f32 v19, -v13, v14, 1.0
	v_fmac_f32_e32 v6, v17, v6
	v_mul_f32_e32 v17, v15, v7
	v_fmac_f32_e32 v14, v19, v14
	v_div_scale_f32 v19, s1, 1.0, v3, 1.0
	v_mul_f32_e32 v23, v20, v6
	v_fma_f32 v21, -v16, v18, 1.0
	v_fma_f32 v22, -v5, v17, v15
	v_mul_f32_e32 v24, v19, v14
	v_fmac_f32_e32 v18, v21, v18
	v_div_scale_f32 v21, s2, 1.0, v4, 1.0
	v_fmac_f32_e32 v17, v22, v7
	v_fma_f32 v22, -v8, v23, v20
	v_fma_f32 v25, -v13, v24, v19
	v_mul_f32_e32 v26, v21, v18
	v_fma_f32 v5, -v5, v17, v15
	v_fmac_f32_e32 v23, v22, v6
	v_fmac_f32_e32 v24, v25, v14
	v_fma_f32 v15, -v16, v26, v21
	v_div_fmas_f32 v5, v5, v7, v17
	v_fma_f32 v7, -v8, v23, v20
	v_fma_f32 v8, -v13, v24, v19
	v_fmac_f32_e32 v26, v15, v18
	s_mov_b32 vcc_lo, s0
	v_div_fixup_f32 v5, v5, v1, 1.0
	v_div_fmas_f32 v6, v7, v6, v23
	s_mov_b32 vcc_lo, s1
	v_fma_f32 v7, -v16, v26, v21
	v_div_fmas_f32 v8, v8, v14, v24
	s_mov_b32 vcc_lo, s2
	v_div_fixup_f32 v6, v6, v2, 1.0
	v_div_fmas_f32 v13, v7, v18, v26
	v_div_fixup_f32 v7, v8, v3, 1.0
	v_div_fixup_f32 v8, v13, v4, 1.0
.LBB18_8:
	s_waitcnt vmcnt(0)
	v_mov_b32_e32 v1, v5
	v_mov_b32_e32 v2, v6
	;; [unrolled: 1-line block ×4, first 2 shown]
	s_lshr_b32 s0, s3, 8
	s_cmp_gt_i32 s9, 0
	s_mov_b32 s1, 0
	s_cbranch_scc1 .LBB18_5
.LBB18_9:
	s_bitcmp1_b32 s0, 0
	s_cselect_b32 s3, -1, 0
.LBB18_10:
	v_mov_b32_e32 v15, 0
	v_add_nc_u32_e32 v14, 32, v0
	v_add_nc_u32_e32 v13, 64, v0
	;; [unrolled: 1-line block ×3, first 2 shown]
	v_mbcnt_lo_u32_b32 v18, -1, 0
	v_mov_b32_e32 v16, v15
	v_mov_b32_e32 v17, v15
	;; [unrolled: 1-line block ×4, first 2 shown]
	s_andn2_b32 vcc_lo, exec_lo, s1
	s_cbranch_vccnz .LBB18_37
; %bb.11:
	s_mov_b32 s1, 0xff7fffff
	v_add_co_u32 v6, vcc_lo, s6, v10
	v_mov_b32_e32 v15, s1
	v_add_co_ci_u32_e64 v7, null, s7, v11, vcc_lo
	v_cmp_u_f32_e32 vcc_lo, v5, v5
	v_xor_b32_e32 v10, 16, v18
	v_xor_b32_e32 v11, 4, v18
	;; [unrolled: 1-line block ×3, first 2 shown]
	v_mov_b32_e32 v20, 0
	v_cndmask_b32_e32 v1, v1, v15, vcc_lo
	s_waitcnt vmcnt(2)
	v_cmp_o_f32_e32 vcc_lo, v2, v2
	v_xor_b32_e32 v15, 2, v18
	v_mov_b32_e32 v19, 0
	v_mov_b32_e32 v17, 0
	s_bitcmp1_b32 s0, 0
	v_cndmask_b32_e32 v2, 0xff7fffff, v2, vcc_lo
	v_cmp_gt_i32_e32 vcc_lo, 32, v10
	s_mov_b32 s5, 0
	s_cselect_b32 s3, -1, 0
	v_cndmask_b32_e32 v5, v18, v10, vcc_lo
	s_waitcnt vmcnt(1)
	v_cmp_o_f32_e32 vcc_lo, v3, v3
	v_xor_b32_e32 v10, 8, v18
	v_lshlrev_b32_e32 v5, 2, v5
	v_cndmask_b32_e32 v3, 0xff7fffff, v3, vcc_lo
	s_waitcnt vmcnt(0)
	v_cmp_o_f32_e32 vcc_lo, v4, v4
	v_cndmask_b32_e32 v4, 0xff7fffff, v4, vcc_lo
	v_cmp_gt_i32_e32 vcc_lo, 32, v10
	v_cndmask_b32_e32 v10, v18, v10, vcc_lo
	v_cmp_gt_i32_e32 vcc_lo, 32, v11
	v_lshlrev_b32_e32 v10, 2, v10
	v_cndmask_b32_e32 v11, v18, v11, vcc_lo
	v_cmp_gt_i32_e32 vcc_lo, 32, v15
	v_lshlrev_b32_e32 v11, 2, v11
	;; [unrolled: 3-line block ×3, first 2 shown]
	v_cndmask_b32_e32 v16, v18, v16, vcc_lo
	v_mov_b32_e32 v15, v20
	v_lshlrev_b32_e32 v22, 2, v16
	v_mov_b32_e32 v16, 0
	s_branch .LBB18_13
.LBB18_12:                              ;   in Loop: Header=BB18_13 Depth=1
	s_or_b32 exec_lo, exec_lo, s0
	s_lshr_b32 s2, s5, 5
	s_and_b32 s6, s5, 31
	s_cmp_eq_u32 s2, 3
	s_cselect_b32 vcc_lo, -1, 0
	s_cmp_eq_u32 s2, 2
	s_cselect_b32 s0, -1, 0
	s_cmp_eq_u32 s2, 1
	s_waitcnt lgkmcnt(0)
	v_cndmask_b32_e64 v26, v16, v23, s0
	s_cselect_b32 s1, -1, 0
	s_cmp_eq_u32 s2, 0
	v_cndmask_b32_e64 v25, v17, v23, s1
	s_cselect_b32 s2, -1, 0
	s_add_i32 s5, s5, 1
	v_cndmask_b32_e64 v24, v19, v23, s2
	v_cmp_eq_u32_e64 s2, s6, v0
	v_cndmask_b32_e32 v23, v15, v23, vcc_lo
	v_add_co_u32 v6, vcc_lo, v6, 4
	v_add_co_ci_u32_e64 v7, null, 0, v7, vcc_lo
	v_cndmask_b32_e64 v19, v19, v24, s2
	v_cndmask_b32_e64 v17, v17, v25, s2
	;; [unrolled: 1-line block ×4, first 2 shown]
	s_cmp_eq_u32 s9, s5
	s_cbranch_scc1 .LBB18_37
.LBB18_13:                              ; =>This Inner Loop Header: Depth=1
	v_cmp_gt_f32_e32 vcc_lo, v2, v1
	s_mov_b32 s2, exec_lo
	v_cndmask_b32_e32 v23, v1, v2, vcc_lo
	v_cndmask_b32_e32 v24, v0, v14, vcc_lo
	v_cmp_gt_f32_e64 s0, v3, v23
	v_cndmask_b32_e64 v23, v23, v3, s0
	v_cndmask_b32_e64 v24, v24, v13, s0
	v_cmp_gt_f32_e32 vcc_lo, v4, v23
	v_cndmask_b32_e32 v23, v23, v4, vcc_lo
	v_cndmask_b32_e32 v24, v24, v8, vcc_lo
	ds_bpermute_b32 v25, v5, v23
	ds_bpermute_b32 v26, v5, v24
	s_waitcnt lgkmcnt(1)
	v_cmp_lt_f32_e64 s1, v23, v25
	v_cmpx_nlt_f32_e32 v23, v25
	s_cbranch_execz .LBB18_15
; %bb.14:                               ;   in Loop: Header=BB18_13 Depth=1
	v_cmp_eq_f32_e32 vcc_lo, v23, v25
	s_waitcnt lgkmcnt(0)
	v_cmp_lt_i32_e64 s0, v26, v24
	s_andn2_b32 s1, s1, exec_lo
	s_and_b32 s0, vcc_lo, s0
	s_and_b32 s0, s0, exec_lo
	s_or_b32 s1, s1, s0
.LBB18_15:                              ;   in Loop: Header=BB18_13 Depth=1
	s_or_b32 exec_lo, exec_lo, s2
	s_and_saveexec_b32 s0, s1
	s_cbranch_execz .LBB18_17
; %bb.16:                               ;   in Loop: Header=BB18_13 Depth=1
	v_mov_b32_e32 v23, v25
	s_waitcnt lgkmcnt(0)
	v_mov_b32_e32 v24, v26
.LBB18_17:                              ;   in Loop: Header=BB18_13 Depth=1
	s_or_b32 exec_lo, exec_lo, s0
	s_waitcnt lgkmcnt(0)
	ds_bpermute_b32 v26, v10, v23
	ds_bpermute_b32 v25, v10, v24
	s_mov_b32 s2, exec_lo
	s_waitcnt lgkmcnt(1)
	v_cmp_lt_f32_e64 s1, v23, v26
	v_cmpx_nlt_f32_e32 v23, v26
	s_cbranch_execz .LBB18_19
; %bb.18:                               ;   in Loop: Header=BB18_13 Depth=1
	v_cmp_eq_f32_e32 vcc_lo, v23, v26
	s_waitcnt lgkmcnt(0)
	v_cmp_lt_i32_e64 s0, v25, v24
	s_andn2_b32 s1, s1, exec_lo
	s_and_b32 s0, vcc_lo, s0
	s_and_b32 s0, s0, exec_lo
	s_or_b32 s1, s1, s0
.LBB18_19:                              ;   in Loop: Header=BB18_13 Depth=1
	s_or_b32 exec_lo, exec_lo, s2
	s_and_saveexec_b32 s0, s1
	s_cbranch_execz .LBB18_21
; %bb.20:                               ;   in Loop: Header=BB18_13 Depth=1
	v_mov_b32_e32 v23, v26
	s_waitcnt lgkmcnt(0)
	v_mov_b32_e32 v24, v25
.LBB18_21:                              ;   in Loop: Header=BB18_13 Depth=1
	s_or_b32 exec_lo, exec_lo, s0
	ds_bpermute_b32 v26, v11, v23
	s_waitcnt lgkmcnt(1)
	ds_bpermute_b32 v25, v11, v24
	s_mov_b32 s2, exec_lo
	s_waitcnt lgkmcnt(1)
	v_cmp_lt_f32_e64 s1, v23, v26
	v_cmpx_nlt_f32_e32 v23, v26
	s_cbranch_execz .LBB18_23
; %bb.22:                               ;   in Loop: Header=BB18_13 Depth=1
	v_cmp_eq_f32_e32 vcc_lo, v23, v26
	s_waitcnt lgkmcnt(0)
	v_cmp_lt_i32_e64 s0, v25, v24
	s_andn2_b32 s1, s1, exec_lo
	s_and_b32 s0, vcc_lo, s0
	s_and_b32 s0, s0, exec_lo
	s_or_b32 s1, s1, s0
.LBB18_23:                              ;   in Loop: Header=BB18_13 Depth=1
	s_or_b32 exec_lo, exec_lo, s2
	s_and_saveexec_b32 s0, s1
	s_cbranch_execz .LBB18_25
; %bb.24:                               ;   in Loop: Header=BB18_13 Depth=1
	v_mov_b32_e32 v23, v26
	s_waitcnt lgkmcnt(0)
	v_mov_b32_e32 v24, v25
.LBB18_25:                              ;   in Loop: Header=BB18_13 Depth=1
	s_or_b32 exec_lo, exec_lo, s0
	ds_bpermute_b32 v26, v21, v23
	s_waitcnt lgkmcnt(1)
	ds_bpermute_b32 v25, v21, v24
	s_mov_b32 s2, exec_lo
	s_waitcnt lgkmcnt(1)
	v_cmp_lt_f32_e64 s1, v23, v26
	v_cmpx_nlt_f32_e32 v23, v26
	s_cbranch_execz .LBB18_27
; %bb.26:                               ;   in Loop: Header=BB18_13 Depth=1
	v_cmp_eq_f32_e32 vcc_lo, v23, v26
	s_waitcnt lgkmcnt(0)
	v_cmp_lt_i32_e64 s0, v25, v24
	s_andn2_b32 s1, s1, exec_lo
	s_and_b32 s0, vcc_lo, s0
	s_and_b32 s0, s0, exec_lo
	s_or_b32 s1, s1, s0
.LBB18_27:                              ;   in Loop: Header=BB18_13 Depth=1
	s_or_b32 exec_lo, exec_lo, s2
	s_and_saveexec_b32 s0, s1
	s_cbranch_execz .LBB18_29
; %bb.28:                               ;   in Loop: Header=BB18_13 Depth=1
	v_mov_b32_e32 v23, v26
	s_waitcnt lgkmcnt(0)
	v_mov_b32_e32 v24, v25
.LBB18_29:                              ;   in Loop: Header=BB18_13 Depth=1
	s_or_b32 exec_lo, exec_lo, s0
	s_waitcnt lgkmcnt(0)
	ds_bpermute_b32 v25, v22, v23
	ds_bpermute_b32 v26, v22, v24
	s_mov_b32 s2, exec_lo
	s_waitcnt lgkmcnt(1)
	v_cmp_lt_f32_e64 s1, v23, v25
	v_cmpx_nlt_f32_e32 v23, v25
	s_cbranch_execz .LBB18_31
; %bb.30:                               ;   in Loop: Header=BB18_13 Depth=1
	v_cmp_eq_f32_e32 vcc_lo, v23, v25
	s_waitcnt lgkmcnt(0)
	v_cmp_lt_i32_e64 s0, v26, v24
	s_andn2_b32 s1, s1, exec_lo
	s_and_b32 s0, vcc_lo, s0
	s_and_b32 s0, s0, exec_lo
	s_or_b32 s1, s1, s0
.LBB18_31:                              ;   in Loop: Header=BB18_13 Depth=1
	s_or_b32 exec_lo, exec_lo, s2
	s_and_saveexec_b32 s0, s1
	s_cbranch_execz .LBB18_33
; %bb.32:                               ;   in Loop: Header=BB18_13 Depth=1
	v_mov_b32_e32 v23, v25
	s_waitcnt lgkmcnt(0)
	v_mov_b32_e32 v24, v26
.LBB18_33:                              ;   in Loop: Header=BB18_13 Depth=1
	s_or_b32 exec_lo, exec_lo, s0
	v_and_b32_e32 v25, 31, v24
	v_cmp_eq_u32_e32 vcc_lo, v25, v0
	s_and_saveexec_b32 s1, vcc_lo
	s_cbranch_execz .LBB18_35
; %bb.34:                               ;   in Loop: Header=BB18_13 Depth=1
	v_ashrrev_i32_e32 v25, 31, v24
	v_lshrrev_b32_e32 v25, 27, v25
	v_add_nc_u32_e32 v25, v24, v25
	v_ashrrev_i32_e32 v25, 5, v25
	v_cmp_ne_u32_e64 s0, 3, v25
	v_cndmask_b32_e64 v4, 0xff800000, v4, s0
	v_cmp_ne_u32_e64 s0, 2, v25
	v_cndmask_b32_e64 v3, 0xff800000, v3, s0
	;; [unrolled: 2-line block ×4, first 2 shown]
.LBB18_35:                              ;   in Loop: Header=BB18_13 Depth=1
	s_or_b32 exec_lo, exec_lo, s1
	s_and_saveexec_b32 s0, vcc_lo
	s_cbranch_execz .LBB18_12
; %bb.36:                               ;   in Loop: Header=BB18_13 Depth=1
	v_add_f32_e32 v25, v20, v23
	global_store_dword v[6:7], v24, off
	v_cndmask_b32_e64 v20, v20, v25, s3
	s_branch .LBB18_12
.LBB18_37:
	s_and_b32 vcc_lo, exec_lo, s3
	s_cbranch_vccz .LBB18_39
; %bb.38:
	v_xor_b32_e32 v1, 16, v18
	s_waitcnt vmcnt(2)
	v_xor_b32_e32 v2, 8, v18
	s_waitcnt vmcnt(1)
	v_xor_b32_e32 v3, 4, v18
	v_cmp_gt_i32_e32 vcc_lo, 32, v1
	v_cndmask_b32_e32 v1, v18, v1, vcc_lo
	v_cmp_gt_i32_e32 vcc_lo, 32, v2
	v_lshlrev_b32_e32 v1, 2, v1
	v_cndmask_b32_e32 v2, v18, v2, vcc_lo
	v_cmp_gt_i32_e32 vcc_lo, 32, v3
	ds_bpermute_b32 v1, v1, v20
	v_lshlrev_b32_e32 v2, 2, v2
	v_cndmask_b32_e32 v3, v18, v3, vcc_lo
	v_lshlrev_b32_e32 v3, 2, v3
	s_waitcnt lgkmcnt(0)
	v_add_f32_e32 v1, v20, v1
	ds_bpermute_b32 v2, v2, v1
	s_waitcnt lgkmcnt(0)
	v_add_f32_e32 v1, v1, v2
	ds_bpermute_b32 v2, v3, v1
	v_xor_b32_e32 v3, 2, v18
	v_cmp_gt_i32_e32 vcc_lo, 32, v3
	v_cndmask_b32_e32 v3, v18, v3, vcc_lo
	v_lshlrev_b32_e32 v3, 2, v3
	s_waitcnt lgkmcnt(0)
	v_add_f32_e32 v1, v1, v2
	ds_bpermute_b32 v2, v3, v1
	v_xor_b32_e32 v3, 1, v18
	v_cmp_gt_i32_e32 vcc_lo, 32, v3
	v_cndmask_b32_e32 v3, v18, v3, vcc_lo
	v_lshlrev_b32_e32 v3, 2, v3
	s_waitcnt lgkmcnt(0)
	v_add_f32_e32 v1, v1, v2
	ds_bpermute_b32 v2, v3, v1
	v_max_f32_e64 v3, s10, s10
	s_waitcnt lgkmcnt(0)
	v_add_f32_e32 v1, v1, v2
	v_max_f32_e32 v1, v1, v3
	v_div_scale_f32 v2, null, v1, v1, 1.0
	v_div_scale_f32 v5, vcc_lo, 1.0, v1, 1.0
	v_rcp_f32_e32 v3, v2
	s_waitcnt vmcnt(0)
	v_fma_f32 v4, -v2, v3, 1.0
	v_fmac_f32_e32 v3, v4, v3
	v_mul_f32_e32 v4, v5, v3
	v_fma_f32 v6, -v2, v4, v5
	v_fmac_f32_e32 v4, v6, v3
	v_fma_f32 v2, -v2, v4, v5
	v_div_fmas_f32 v2, v2, v3, v4
	v_div_fixup_f32 v1, v2, v1, 1.0
	v_mul_f32_e32 v19, v1, v19
	v_mul_f32_e32 v17, v1, v17
	;; [unrolled: 1-line block ×4, first 2 shown]
.LBB18_39:
	v_cmp_gt_i32_e64 s0, s9, v14
	v_cmp_gt_i32_e64 s1, s9, v13
	v_cmp_gt_i32_e64 s2, s9, v8
	v_cmp_gt_i32_e64 s3, s9, v0
	s_andn2_b32 vcc_lo, exec_lo, s4
	s_cbranch_vccnz .LBB18_41
; %bb.40:
	v_max_f32_e32 v1, v19, v19
	s_waitcnt vmcnt(2)
	v_max_f32_e32 v2, v17, v17
	s_waitcnt vmcnt(1)
	;; [unrolled: 2-line block ×3, first 2 shown]
	v_max_f32_e32 v4, v15, v15
	v_xor_b32_e32 v5, 4, v18
	v_max_f32_e32 v1, 0xff800000, v1
	v_xor_b32_e32 v6, 2, v18
	v_xor_b32_e32 v7, 1, v18
	s_mov_b32 s4, 0
	v_cndmask_b32_e64 v1, 0xff800000, v1, s3
	v_max_f32_e32 v2, v1, v2
	v_cndmask_b32_e64 v1, v1, v2, s0
	v_max_f32_e32 v2, v1, v3
	v_xor_b32_e32 v3, 16, v18
	v_cndmask_b32_e64 v1, v1, v2, s1
	v_cmp_gt_i32_e32 vcc_lo, 32, v3
	v_cndmask_b32_e32 v2, v18, v3, vcc_lo
	v_max_f32_e32 v3, v1, v4
	v_xor_b32_e32 v4, 8, v18
	v_lshlrev_b32_e32 v2, 2, v2
	v_cndmask_b32_e64 v1, v1, v3, s2
	v_cmp_gt_i32_e32 vcc_lo, 32, v4
	ds_bpermute_b32 v3, v2, v1
	v_cndmask_b32_e32 v4, v18, v4, vcc_lo
	v_cmp_gt_i32_e32 vcc_lo, 32, v5
	v_lshlrev_b32_e32 v4, 2, v4
	v_cndmask_b32_e32 v5, v18, v5, vcc_lo
	v_cmp_gt_i32_e32 vcc_lo, 32, v6
	v_lshlrev_b32_e32 v5, 2, v5
	;; [unrolled: 3-line block ×3, first 2 shown]
	v_cndmask_b32_e32 v7, v18, v7, vcc_lo
	s_waitcnt lgkmcnt(0)
	v_max_f32_e32 v3, v3, v3
	v_lshlrev_b32_e32 v7, 2, v7
	v_max_f32_e32 v1, v1, v3
	ds_bpermute_b32 v3, v4, v1
	s_waitcnt lgkmcnt(0)
	v_max_f32_e32 v3, v3, v3
	v_max_f32_e32 v1, v1, v3
	ds_bpermute_b32 v3, v5, v1
	s_waitcnt lgkmcnt(0)
	v_max_f32_e32 v3, v3, v3
	;; [unrolled: 4-line block ×4, first 2 shown]
	v_max_f32_e32 v1, v1, v3
	v_sub_f32_e32 v3, v19, v1
	v_sub_f32_e32 v10, v17, v1
	;; [unrolled: 1-line block ×4, first 2 shown]
	v_mul_f32_e32 v11, 0x3fb8aa3b, v3
	v_mul_f32_e32 v17, 0x3fb8aa3b, v10
	;; [unrolled: 1-line block ×4, first 2 shown]
	v_cmp_ngt_f32_e32 vcc_lo, 0xc2ce8ed0, v3
	v_fma_f32 v18, 0x3fb8aa3b, v3, -v11
	v_rndne_f32_e32 v19, v11
	v_fma_f32 v15, 0x3fb8aa3b, v10, -v17
	v_rndne_f32_e32 v20, v17
	v_rndne_f32_e32 v23, v21
	v_fmac_f32_e32 v18, 0x32a5705f, v3
	v_sub_f32_e32 v11, v11, v19
	v_fmac_f32_e32 v15, 0x32a5705f, v10
	v_sub_f32_e32 v17, v17, v20
	v_cvt_i32_f32_e32 v19, v19
	v_cvt_i32_f32_e32 v20, v20
	v_add_f32_e32 v11, v11, v18
	v_fma_f32 v18, 0x3fb8aa3b, v16, -v21
	v_add_f32_e32 v15, v17, v15
	v_sub_f32_e32 v21, v21, v23
	v_fma_f32 v17, 0x3fb8aa3b, v1, -v22
	v_exp_f32_e32 v11, v11
	v_fmac_f32_e32 v18, 0x32a5705f, v16
	v_exp_f32_e32 v15, v15
	v_rndne_f32_e32 v24, v22
	v_fmac_f32_e32 v17, 0x32a5705f, v1
	v_add_f32_e32 v18, v21, v18
	v_cvt_i32_f32_e32 v21, v23
	v_ldexp_f32 v11, v11, v19
	v_sub_f32_e32 v19, v22, v24
	v_ldexp_f32 v15, v15, v20
	v_exp_f32_e32 v18, v18
	v_cndmask_b32_e32 v11, 0, v11, vcc_lo
	v_cmp_ngt_f32_e32 vcc_lo, 0xc2ce8ed0, v10
	v_add_f32_e32 v17, v19, v17
	v_cndmask_b32_e32 v15, 0, v15, vcc_lo
	v_cmp_nlt_f32_e32 vcc_lo, 0x42b17218, v3
	v_cndmask_b32_e32 v3, 0x7f800000, v11, vcc_lo
	v_cmp_nlt_f32_e32 vcc_lo, 0x42b17218, v10
	v_exp_f32_e32 v11, v17
	v_ldexp_f32 v17, v18, v21
	v_cndmask_b32_e64 v3, 0, v3, s3
	v_cndmask_b32_e32 v10, 0x7f800000, v15, vcc_lo
	v_cmp_ngt_f32_e32 vcc_lo, 0xc2ce8ed0, v16
	v_cvt_i32_f32_e32 v15, v24
	v_add_f32_e32 v18, v10, v3
	v_cndmask_b32_e32 v17, 0, v17, vcc_lo
	v_cmp_nlt_f32_e32 vcc_lo, 0x42b17218, v16
	v_ldexp_f32 v11, v11, v15
	v_cndmask_b32_e64 v16, v3, v18, s0
	v_cndmask_b32_e32 v15, 0x7f800000, v17, vcc_lo
	v_cmp_ngt_f32_e32 vcc_lo, 0xc2ce8ed0, v1
	v_add_f32_e32 v17, v16, v15
	v_cndmask_b32_e32 v11, 0, v11, vcc_lo
	v_cmp_nlt_f32_e32 vcc_lo, 0x42b17218, v1
	v_cndmask_b32_e32 v1, 0x7f800000, v11, vcc_lo
	v_cndmask_b32_e64 v11, v16, v17, s1
	v_add_f32_e32 v16, v11, v1
	v_cndmask_b32_e64 v11, v11, v16, s2
	ds_bpermute_b32 v2, v2, v11
	s_waitcnt lgkmcnt(0)
	v_add_f32_e32 v2, v11, v2
	ds_bpermute_b32 v4, v4, v2
	s_waitcnt lgkmcnt(0)
	v_add_f32_e32 v2, v2, v4
	ds_bpermute_b32 v4, v5, v2
	s_waitcnt lgkmcnt(0)
	v_add_f32_e32 v2, v2, v4
	ds_bpermute_b32 v4, v6, v2
	s_waitcnt lgkmcnt(0)
	v_add_f32_e32 v2, v2, v4
	ds_bpermute_b32 v4, v7, v2
	s_waitcnt lgkmcnt(0)
	v_add_f32_e32 v2, v2, v4
	v_div_scale_f32 v4, null, v2, v2, 1.0
	v_div_scale_f32 v7, vcc_lo, 1.0, v2, 1.0
	v_rcp_f32_e32 v5, v4
	v_fma_f32 v6, -v4, v5, 1.0
	v_fmac_f32_e32 v5, v6, v5
	v_mul_f32_e32 v6, v7, v5
	v_fma_f32 v11, -v4, v6, v7
	v_fmac_f32_e32 v6, v11, v5
	v_fma_f32 v4, -v4, v6, v7
	v_mov_b32_e32 v7, s4
	v_div_fmas_f32 v4, v4, v5, v6
	v_mov_b32_e32 v5, s4
	v_mov_b32_e32 v6, s4
	v_cndmask_b32_e64 v7, v7, v10, s0
	v_cndmask_b32_e64 v10, 0, v10, s0
	v_div_fixup_f32 v2, v4, v2, 1.0
	v_cndmask_b32_e64 v16, v5, v15, s1
	v_cndmask_b32_e64 v4, 0, v15, s1
	;; [unrolled: 1-line block ×4, first 2 shown]
	v_mul_f32_e32 v6, v3, v2
	v_mul_f32_e32 v10, v10, v2
	;; [unrolled: 1-line block ×4, first 2 shown]
	v_cndmask_b32_e64 v19, v3, v6, s3
	v_cndmask_b32_e64 v17, v7, v10, s0
	;; [unrolled: 1-line block ×4, first 2 shown]
.LBB18_41:
	v_mul_lo_u32 v1, v9, s9
	s_mov_b32 s0, exec_lo
	s_waitcnt vmcnt(2)
	v_ashrrev_i32_e32 v2, 31, v1
	v_lshlrev_b64 v[1:2], 2, v[1:2]
	v_add_co_u32 v1, vcc_lo, s14, v1
	v_add_co_ci_u32_e64 v2, null, s15, v2, vcc_lo
	v_cmpx_gt_i32_e64 s9, v0
	s_cbranch_execnz .LBB18_47
; %bb.42:
	s_or_b32 exec_lo, exec_lo, s0
	s_mov_b32 s0, exec_lo
	v_cmpx_gt_i32_e64 s9, v14
	s_cbranch_execnz .LBB18_48
.LBB18_43:
	s_or_b32 exec_lo, exec_lo, s0
	s_mov_b32 s0, exec_lo
	v_cmpx_gt_i32_e64 s9, v13
	s_cbranch_execnz .LBB18_49
.LBB18_44:
	s_or_b32 exec_lo, exec_lo, s0
	v_cmp_gt_i32_e32 vcc_lo, s9, v8
	s_and_b32 exec_lo, exec_lo, vcc_lo
	s_cbranch_execz .LBB18_46
.LBB18_45:
	v_add_co_u32 v0, vcc_lo, v1, v12
	v_add_co_ci_u32_e64 v1, null, 0, v2, vcc_lo
	v_mul_f32_e32 v2, s11, v15
	global_store_dword v[0:1], v2, off offset:384
.LBB18_46:
	s_endpgm
.LBB18_47:
	s_waitcnt vmcnt(1)
	v_add_co_u32 v3, vcc_lo, v1, v12
	s_waitcnt vmcnt(0)
	v_add_co_ci_u32_e64 v4, null, 0, v2, vcc_lo
	v_mul_f32_e32 v0, s11, v19
	global_store_dword v[3:4], v0, off
	s_or_b32 exec_lo, exec_lo, s0
	s_mov_b32 s0, exec_lo
	v_cmpx_gt_i32_e64 s9, v14
	s_cbranch_execz .LBB18_43
.LBB18_48:
	s_waitcnt vmcnt(1)
	v_add_co_u32 v3, vcc_lo, v1, v12
	s_waitcnt vmcnt(0)
	v_add_co_ci_u32_e64 v4, null, 0, v2, vcc_lo
	v_mul_f32_e32 v0, s11, v17
	global_store_dword v[3:4], v0, off offset:128
	s_or_b32 exec_lo, exec_lo, s0
	s_mov_b32 s0, exec_lo
	v_cmpx_gt_i32_e64 s9, v13
	s_cbranch_execz .LBB18_44
.LBB18_49:
	s_waitcnt vmcnt(1)
	v_add_co_u32 v3, vcc_lo, v1, v12
	s_waitcnt vmcnt(0)
	v_add_co_ci_u32_e64 v4, null, 0, v2, vcc_lo
	v_mul_f32_e32 v0, s11, v16
	global_store_dword v[3:4], v0, off offset:256
	s_or_b32 exec_lo, exec_lo, s0
	v_cmp_gt_i32_e32 vcc_lo, s9, v8
	s_and_b32 exec_lo, exec_lo, vcc_lo
	s_cbranch_execnz .LBB18_45
	s_branch .LBB18_46
	.section	.rodata,"a",@progbits
	.p2align	6, 0x0
	.amdhsa_kernel _Z13topk_moe_cudaILi128ELb0EEvPKfPfPiS2_iiff15topk_moe_config
		.amdhsa_group_segment_fixed_size 0
		.amdhsa_private_segment_fixed_size 0
		.amdhsa_kernarg_size 312
		.amdhsa_user_sgpr_count 6
		.amdhsa_user_sgpr_private_segment_buffer 1
		.amdhsa_user_sgpr_dispatch_ptr 0
		.amdhsa_user_sgpr_queue_ptr 0
		.amdhsa_user_sgpr_kernarg_segment_ptr 1
		.amdhsa_user_sgpr_dispatch_id 0
		.amdhsa_user_sgpr_flat_scratch_init 0
		.amdhsa_user_sgpr_private_segment_size 0
		.amdhsa_wavefront_size32 1
		.amdhsa_uses_dynamic_stack 0
		.amdhsa_system_sgpr_private_segment_wavefront_offset 0
		.amdhsa_system_sgpr_workgroup_id_x 1
		.amdhsa_system_sgpr_workgroup_id_y 0
		.amdhsa_system_sgpr_workgroup_id_z 0
		.amdhsa_system_sgpr_workgroup_info 0
		.amdhsa_system_vgpr_workitem_id 1
		.amdhsa_next_free_vgpr 30
		.amdhsa_next_free_sgpr 16
		.amdhsa_reserve_vcc 1
		.amdhsa_reserve_flat_scratch 0
		.amdhsa_float_round_mode_32 0
		.amdhsa_float_round_mode_16_64 0
		.amdhsa_float_denorm_mode_32 3
		.amdhsa_float_denorm_mode_16_64 3
		.amdhsa_dx10_clamp 1
		.amdhsa_ieee_mode 1
		.amdhsa_fp16_overflow 0
		.amdhsa_workgroup_processor_mode 1
		.amdhsa_memory_ordered 1
		.amdhsa_forward_progress 1
		.amdhsa_shared_vgpr_count 0
		.amdhsa_exception_fp_ieee_invalid_op 0
		.amdhsa_exception_fp_denorm_src 0
		.amdhsa_exception_fp_ieee_div_zero 0
		.amdhsa_exception_fp_ieee_overflow 0
		.amdhsa_exception_fp_ieee_underflow 0
		.amdhsa_exception_fp_ieee_inexact 0
		.amdhsa_exception_int_div_zero 0
	.end_amdhsa_kernel
	.section	.text._Z13topk_moe_cudaILi128ELb0EEvPKfPfPiS2_iiff15topk_moe_config,"axG",@progbits,_Z13topk_moe_cudaILi128ELb0EEvPKfPfPiS2_iiff15topk_moe_config,comdat
.Lfunc_end18:
	.size	_Z13topk_moe_cudaILi128ELb0EEvPKfPfPiS2_iiff15topk_moe_config, .Lfunc_end18-_Z13topk_moe_cudaILi128ELb0EEvPKfPfPiS2_iiff15topk_moe_config
                                        ; -- End function
	.set _Z13topk_moe_cudaILi128ELb0EEvPKfPfPiS2_iiff15topk_moe_config.num_vgpr, 30
	.set _Z13topk_moe_cudaILi128ELb0EEvPKfPfPiS2_iiff15topk_moe_config.num_agpr, 0
	.set _Z13topk_moe_cudaILi128ELb0EEvPKfPfPiS2_iiff15topk_moe_config.numbered_sgpr, 16
	.set _Z13topk_moe_cudaILi128ELb0EEvPKfPfPiS2_iiff15topk_moe_config.num_named_barrier, 0
	.set _Z13topk_moe_cudaILi128ELb0EEvPKfPfPiS2_iiff15topk_moe_config.private_seg_size, 0
	.set _Z13topk_moe_cudaILi128ELb0EEvPKfPfPiS2_iiff15topk_moe_config.uses_vcc, 1
	.set _Z13topk_moe_cudaILi128ELb0EEvPKfPfPiS2_iiff15topk_moe_config.uses_flat_scratch, 0
	.set _Z13topk_moe_cudaILi128ELb0EEvPKfPfPiS2_iiff15topk_moe_config.has_dyn_sized_stack, 0
	.set _Z13topk_moe_cudaILi128ELb0EEvPKfPfPiS2_iiff15topk_moe_config.has_recursion, 0
	.set _Z13topk_moe_cudaILi128ELb0EEvPKfPfPiS2_iiff15topk_moe_config.has_indirect_call, 0
	.section	.AMDGPU.csdata,"",@progbits
; Kernel info:
; codeLenInByte = 4400
; TotalNumSgprs: 18
; NumVgprs: 30
; ScratchSize: 0
; MemoryBound: 0
; FloatMode: 240
; IeeeMode: 1
; LDSByteSize: 0 bytes/workgroup (compile time only)
; SGPRBlocks: 0
; VGPRBlocks: 3
; NumSGPRsForWavesPerEU: 18
; NumVGPRsForWavesPerEU: 30
; Occupancy: 16
; WaveLimiterHint : 1
; COMPUTE_PGM_RSRC2:SCRATCH_EN: 0
; COMPUTE_PGM_RSRC2:USER_SGPR: 6
; COMPUTE_PGM_RSRC2:TRAP_HANDLER: 0
; COMPUTE_PGM_RSRC2:TGID_X_EN: 1
; COMPUTE_PGM_RSRC2:TGID_Y_EN: 0
; COMPUTE_PGM_RSRC2:TGID_Z_EN: 0
; COMPUTE_PGM_RSRC2:TIDIG_COMP_CNT: 1
	.section	.text._Z13topk_moe_cudaILi256ELb0EEvPKfPfPiS2_iiff15topk_moe_config,"axG",@progbits,_Z13topk_moe_cudaILi256ELb0EEvPKfPfPiS2_iiff15topk_moe_config,comdat
	.protected	_Z13topk_moe_cudaILi256ELb0EEvPKfPfPiS2_iiff15topk_moe_config ; -- Begin function _Z13topk_moe_cudaILi256ELb0EEvPKfPfPiS2_iiff15topk_moe_config
	.globl	_Z13topk_moe_cudaILi256ELb0EEvPKfPfPiS2_iiff15topk_moe_config
	.p2align	8
	.type	_Z13topk_moe_cudaILi256ELb0EEvPKfPfPiS2_iiff15topk_moe_config,@function
_Z13topk_moe_cudaILi256ELb0EEvPKfPfPiS2_iiff15topk_moe_config: ; @_Z13topk_moe_cudaILi256ELb0EEvPKfPfPiS2_iiff15topk_moe_config
; %bb.0:
	s_clause 0x1
	s_load_dword s0, s[4:5], 0x44
	s_load_dwordx4 s[8:11], s[4:5], 0x20
	s_waitcnt lgkmcnt(0)
	s_lshr_b32 s0, s0, 16
	v_mad_u64_u32 v[25:26], null, s6, s0, v[1:2]
	s_mov_b32 s0, exec_lo
	v_cmpx_gt_i32_e64 s8, v25
	s_cbranch_execz .LBB19_50
; %bb.1:
	s_load_dwordx4 s[12:15], s[4:5], 0x0
	v_lshlrev_b32_e32 v1, 8, v25
	v_lshlrev_b32_e32 v28, 2, v0
	s_clause 0x1
	s_load_dwordx2 s[6:7], s[4:5], 0x10
	s_load_dword s0, s[4:5], 0x30
	v_ashrrev_i32_e32 v2, 31, v1
	v_lshlrev_b64 v[26:27], 2, v[1:2]
	v_mov_b32_e32 v1, 0
	global_load_ushort v1, v1, s[4:5] offset:48
	s_waitcnt lgkmcnt(0)
	v_add_co_u32 v2, vcc_lo, s12, v26
	v_add_co_ci_u32_e64 v3, null, s13, v27, vcc_lo
	v_add_co_u32 v2, vcc_lo, v2, v28
	v_add_co_ci_u32_e64 v3, null, 0, v3, vcc_lo
	s_clause 0x7
	global_load_dword v9, v[2:3], off
	global_load_dword v10, v[2:3], off offset:128
	global_load_dword v11, v[2:3], off offset:256
	;; [unrolled: 1-line block ×7, first 2 shown]
	s_waitcnt vmcnt(8)
	v_readfirstlane_b32 s1, v1
	s_and_b32 s4, 0xffff, s1
	s_bitcmp1_b32 s0, 16
	s_cselect_b32 s8, -1, 0
	s_and_b32 vcc_lo, exec_lo, s8
	s_cbranch_vccnz .LBB19_4
; %bb.2:
	v_and_b32_e32 v1, 1, v1
	s_mov_b32 s0, 0
	v_cmp_eq_u32_e32 vcc_lo, 0, v1
	s_cbranch_vccz .LBB19_6
; %bb.3:
	v_mbcnt_lo_u32_b32 v2, -1, 0
	s_waitcnt vmcnt(6)
	v_max3_f32 v1, v9, 0xff800000, v10
	v_xor_b32_e32 v3, 16, v2
	s_waitcnt vmcnt(4)
	v_max3_f32 v1, v1, v11, v12
	v_xor_b32_e32 v5, 8, v2
	v_xor_b32_e32 v6, 4, v2
	;; [unrolled: 1-line block ×3, first 2 shown]
	v_cmp_gt_i32_e32 vcc_lo, 32, v3
	s_waitcnt vmcnt(2)
	v_max3_f32 v1, v1, v13, v14
	v_xor_b32_e32 v8, 1, v2
	v_cndmask_b32_e32 v3, v2, v3, vcc_lo
	s_waitcnt vmcnt(0)
	v_max3_f32 v1, v1, v15, v16
	v_cmp_gt_i32_e32 vcc_lo, 32, v5
	v_lshlrev_b32_e32 v3, 2, v3
	v_cndmask_b32_e32 v5, v2, v5, vcc_lo
	v_cmp_gt_i32_e32 vcc_lo, 32, v6
	ds_bpermute_b32 v4, v3, v1
	v_lshlrev_b32_e32 v5, 2, v5
	v_cndmask_b32_e32 v6, v2, v6, vcc_lo
	v_cmp_gt_i32_e32 vcc_lo, 32, v7
	v_lshlrev_b32_e32 v6, 2, v6
	v_cndmask_b32_e32 v7, v2, v7, vcc_lo
	v_cmp_gt_i32_e32 vcc_lo, 32, v8
	v_lshlrev_b32_e32 v7, 2, v7
	v_cndmask_b32_e32 v2, v2, v8, vcc_lo
	v_lshlrev_b32_e32 v2, 2, v2
	s_waitcnt lgkmcnt(0)
	v_max_f32_e32 v4, v4, v4
	v_max_f32_e32 v1, v1, v4
	ds_bpermute_b32 v4, v5, v1
	s_waitcnt lgkmcnt(0)
	v_max_f32_e32 v4, v4, v4
	v_max_f32_e32 v1, v1, v4
	ds_bpermute_b32 v4, v6, v1
	;; [unrolled: 4-line block ×4, first 2 shown]
	s_waitcnt lgkmcnt(0)
	v_max_f32_e32 v4, v4, v4
	v_max_f32_e32 v1, v1, v4
	v_sub_f32_e32 v4, v9, v1
	v_sub_f32_e32 v8, v10, v1
	;; [unrolled: 1-line block ×5, first 2 shown]
	v_mul_f32_e32 v22, 0x3fb8aa3b, v4
	v_mul_f32_e32 v23, 0x3fb8aa3b, v8
	;; [unrolled: 1-line block ×4, first 2 shown]
	v_cmp_ngt_f32_e32 vcc_lo, 0xc2ce8ed0, v4
	v_fma_f32 v34, 0x3fb8aa3b, v4, -v22
	v_rndne_f32_e32 v35, v22
	v_fma_f32 v36, 0x3fb8aa3b, v8, -v23
	v_rndne_f32_e32 v37, v23
	v_fma_f32 v38, 0x3fb8aa3b, v17, -v24
	v_fmac_f32_e32 v34, 0x32a5705f, v4
	v_sub_f32_e32 v22, v22, v35
	v_rndne_f32_e32 v39, v24
	v_fmac_f32_e32 v36, 0x32a5705f, v8
	v_sub_f32_e32 v23, v23, v37
	v_fmac_f32_e32 v38, 0x32a5705f, v17
	v_add_f32_e32 v22, v22, v34
	v_sub_f32_e32 v24, v24, v39
	v_cvt_i32_f32_e32 v35, v35
	v_add_f32_e32 v23, v23, v36
	v_fma_f32 v40, 0x3fb8aa3b, v18, -v29
	v_exp_f32_e32 v22, v22
	v_add_f32_e32 v24, v24, v38
	v_rndne_f32_e32 v41, v29
	v_exp_f32_e32 v23, v23
	v_cvt_i32_f32_e32 v37, v37
	v_mul_f32_e32 v30, 0x3fb8aa3b, v19
	v_exp_f32_e32 v24, v24
	v_cvt_i32_f32_e32 v39, v39
	v_fmac_f32_e32 v40, 0x32a5705f, v18
	v_sub_f32_e32 v29, v29, v41
	v_ldexp_f32 v22, v22, v35
	v_sub_f32_e32 v20, v14, v1
	v_fma_f32 v42, 0x3fb8aa3b, v19, -v30
	v_ldexp_f32 v23, v23, v37
	v_rndne_f32_e32 v43, v30
	v_cndmask_b32_e32 v22, 0, v22, vcc_lo
	v_cmp_ngt_f32_e32 vcc_lo, 0xc2ce8ed0, v8
	v_add_f32_e32 v29, v29, v40
	v_ldexp_f32 v24, v24, v39
	v_mul_f32_e32 v31, 0x3fb8aa3b, v20
	v_fmac_f32_e32 v42, 0x32a5705f, v19
	v_cndmask_b32_e32 v23, 0, v23, vcc_lo
	v_cmp_ngt_f32_e32 vcc_lo, 0xc2ce8ed0, v17
	v_sub_f32_e32 v30, v30, v43
	v_exp_f32_e32 v29, v29
	v_sub_f32_e32 v21, v15, v1
	v_fma_f32 v44, 0x3fb8aa3b, v20, -v31
	v_cndmask_b32_e32 v24, 0, v24, vcc_lo
	v_cmp_nlt_f32_e32 vcc_lo, 0x42b17218, v4
	v_rndne_f32_e32 v45, v31
	v_cvt_i32_f32_e32 v41, v41
	v_add_f32_e32 v30, v30, v42
	v_mul_f32_e32 v32, 0x3fb8aa3b, v21
	v_cndmask_b32_e32 v4, 0x7f800000, v22, vcc_lo
	v_cmp_nlt_f32_e32 vcc_lo, 0x42b17218, v8
	v_fmac_f32_e32 v44, 0x32a5705f, v20
	v_sub_f32_e32 v31, v31, v45
	v_exp_f32_e32 v30, v30
	v_ldexp_f32 v29, v29, v41
	v_cndmask_b32_e32 v8, 0x7f800000, v23, vcc_lo
	v_cmp_ngt_f32_e32 vcc_lo, 0xc2ce8ed0, v18
	v_sub_f32_e32 v1, v16, v1
	v_fma_f32 v46, 0x3fb8aa3b, v21, -v32
	v_rndne_f32_e32 v47, v32
	v_cvt_i32_f32_e32 v43, v43
	v_add_f32_e32 v31, v31, v44
	v_cndmask_b32_e32 v22, 0, v29, vcc_lo
	v_cmp_nlt_f32_e32 vcc_lo, 0x42b17218, v17
	v_mul_f32_e32 v33, 0x3fb8aa3b, v1
	v_fmac_f32_e32 v46, 0x32a5705f, v21
	v_sub_f32_e32 v32, v32, v47
	v_exp_f32_e32 v31, v31
	v_ldexp_f32 v30, v30, v43
	v_cndmask_b32_e32 v23, 0x7f800000, v24, vcc_lo
	v_cmp_ngt_f32_e32 vcc_lo, 0xc2ce8ed0, v19
	v_fma_f32 v48, 0x3fb8aa3b, v1, -v33
	v_rndne_f32_e32 v49, v33
	v_cvt_i32_f32_e32 v45, v45
	v_add_f32_e32 v32, v32, v46
	v_cndmask_b32_e32 v24, 0, v30, vcc_lo
	v_cmp_nlt_f32_e32 vcc_lo, 0x42b17218, v18
	v_fmac_f32_e32 v48, 0x32a5705f, v1
	v_sub_f32_e32 v33, v33, v49
	v_exp_f32_e32 v32, v32
	v_ldexp_f32 v31, v31, v45
	v_cndmask_b32_e32 v22, 0x7f800000, v22, vcc_lo
	v_cmp_ngt_f32_e32 vcc_lo, 0xc2ce8ed0, v20
	v_add_f32_e32 v33, v33, v48
	v_cvt_i32_f32_e32 v34, v47
	v_add_f32_e32 v17, v4, v8
	v_cvt_i32_f32_e32 v36, v49
	v_cndmask_b32_e32 v18, 0, v31, vcc_lo
	v_cmp_nlt_f32_e32 vcc_lo, 0x42b17218, v19
	v_exp_f32_e32 v33, v33
	v_ldexp_f32 v32, v32, v34
	v_add_f32_e32 v17, v23, v17
	v_cndmask_b32_e32 v24, 0x7f800000, v24, vcc_lo
	v_cmp_ngt_f32_e32 vcc_lo, 0xc2ce8ed0, v21
	v_add_f32_e32 v17, v22, v17
	v_cndmask_b32_e32 v19, 0, v32, vcc_lo
	v_cmp_nlt_f32_e32 vcc_lo, 0x42b17218, v20
	v_ldexp_f32 v33, v33, v36
	v_add_f32_e32 v17, v24, v17
	v_cndmask_b32_e32 v29, 0x7f800000, v18, vcc_lo
	v_cmp_ngt_f32_e32 vcc_lo, 0xc2ce8ed0, v1
	v_add_f32_e32 v17, v29, v17
	v_cndmask_b32_e32 v18, 0, v33, vcc_lo
	v_cmp_nlt_f32_e32 vcc_lo, 0x42b17218, v21
	v_cndmask_b32_e32 v30, 0x7f800000, v19, vcc_lo
	v_cmp_nlt_f32_e32 vcc_lo, 0x42b17218, v1
	v_add_f32_e32 v17, v30, v17
	v_cndmask_b32_e32 v1, 0x7f800000, v18, vcc_lo
	v_add_f32_e32 v17, v1, v17
	ds_bpermute_b32 v3, v3, v17
	s_waitcnt lgkmcnt(0)
	v_add_f32_e32 v3, v17, v3
	ds_bpermute_b32 v5, v5, v3
	s_waitcnt lgkmcnt(0)
	;; [unrolled: 3-line block ×5, first 2 shown]
	v_add_f32_e32 v2, v3, v2
	v_div_scale_f32 v3, null, v2, v2, 1.0
	v_div_scale_f32 v7, vcc_lo, 1.0, v2, 1.0
	v_rcp_f32_e32 v5, v3
	v_fma_f32 v6, -v3, v5, 1.0
	v_fmac_f32_e32 v5, v6, v5
	v_mul_f32_e32 v6, v7, v5
	v_fma_f32 v17, -v3, v6, v7
	v_fmac_f32_e32 v6, v17, v5
	v_fma_f32 v3, -v3, v6, v7
	v_div_fmas_f32 v3, v3, v5, v6
	v_div_fixup_f32 v2, v3, v2, 1.0
	v_mul_f32_e32 v17, v4, v2
	v_mul_f32_e32 v18, v8, v2
	;; [unrolled: 1-line block ×8, first 2 shown]
	s_andn2_b32 vcc_lo, exec_lo, s0
	s_cbranch_vccz .LBB19_7
	s_branch .LBB19_8
.LBB19_4:
	s_waitcnt vmcnt(7)
	v_mov_b32_e32 v17, v9
	s_lshr_b32 s0, s4, 8
	s_cmp_gt_i32 s9, 0
	s_mov_b32 s2, 0
	s_cbranch_scc0 .LBB19_9
.LBB19_5:
	s_mov_b32 s2, -1
                                        ; implicit-def: $sgpr1
	s_branch .LBB19_10
.LBB19_6:
                                        ; implicit-def: $vgpr17
.LBB19_7:
	s_waitcnt vmcnt(7)
	v_mul_f32_e32 v1, 0xbfb8aa3b, v9
	s_waitcnt vmcnt(6)
	v_mul_f32_e32 v2, 0xbfb8aa3b, v10
	;; [unrolled: 2-line block ×3, first 2 shown]
	v_cmp_nlt_f32_e32 vcc_lo, 0x42ce8ed0, v9
	s_waitcnt vmcnt(4)
	v_cmp_nlt_f32_e64 s2, 0x42ce8ed0, v12
	v_rndne_f32_e32 v4, v1
	v_fma_f32 v5, 0xbfb8aa3b, v9, -v1
	v_rndne_f32_e32 v6, v2
	v_fma_f32 v7, 0xbfb8aa3b, v10, -v2
	v_rndne_f32_e32 v8, v3
	v_sub_f32_e32 v1, v1, v4
	v_fmac_f32_e32 v5, 0xb2a5705f, v9
	v_fma_f32 v17, 0xbfb8aa3b, v11, -v3
	v_sub_f32_e32 v2, v2, v6
	v_fmac_f32_e32 v7, 0xb2a5705f, v10
	v_sub_f32_e32 v3, v3, v8
	v_add_f32_e32 v1, v1, v5
	v_fmac_f32_e32 v17, 0xb2a5705f, v11
	v_cvt_i32_f32_e32 v4, v4
	v_add_f32_e32 v2, v2, v7
	v_cvt_i32_f32_e32 v6, v6
	v_exp_f32_e32 v1, v1
	v_add_f32_e32 v3, v3, v17
	v_cvt_i32_f32_e32 v7, v8
	v_exp_f32_e32 v2, v2
	v_mul_f32_e32 v5, 0xbfb8aa3b, v12
	v_exp_f32_e32 v3, v3
	v_rndne_f32_e32 v8, v5
	v_ldexp_f32 v1, v1, v4
	v_fma_f32 v4, 0xbfb8aa3b, v12, -v5
	v_ldexp_f32 v2, v2, v6
	v_sub_f32_e32 v5, v5, v8
	v_cndmask_b32_e32 v1, 0, v1, vcc_lo
	v_cmp_nlt_f32_e32 vcc_lo, 0x42ce8ed0, v10
	v_ldexp_f32 v3, v3, v7
	v_fmac_f32_e32 v4, 0xb2a5705f, v12
	v_cvt_i32_f32_e32 v8, v8
	v_cndmask_b32_e32 v2, 0, v2, vcc_lo
	v_cmp_nlt_f32_e32 vcc_lo, 0x42ce8ed0, v11
	v_add_f32_e32 v4, v5, v4
	v_cndmask_b32_e32 v3, 0, v3, vcc_lo
	v_cmp_ngt_f32_e32 vcc_lo, 0xc2b17218, v9
	v_exp_f32_e32 v4, v4
	v_cndmask_b32_e32 v1, 0x7f800000, v1, vcc_lo
	v_cmp_ngt_f32_e32 vcc_lo, 0xc2b17218, v10
	v_add_f32_e32 v1, 1.0, v1
	v_cndmask_b32_e32 v2, 0x7f800000, v2, vcc_lo
	v_cmp_ngt_f32_e32 vcc_lo, 0xc2b17218, v11
	v_ldexp_f32 v4, v4, v8
	v_div_scale_f32 v6, null, v1, v1, 1.0
	v_cndmask_b32_e32 v3, 0x7f800000, v3, vcc_lo
	v_add_f32_e32 v2, 1.0, v2
	v_div_scale_f32 v17, vcc_lo, 1.0, v1, 1.0
	v_rcp_f32_e32 v5, v6
	v_add_f32_e32 v3, 1.0, v3
	v_div_scale_f32 v7, null, v2, v2, 1.0
	v_div_scale_f32 v18, s0, 1.0, v2, 1.0
	v_div_scale_f32 v9, null, v3, v3, 1.0
	v_rcp_f32_e32 v10, v7
	v_div_scale_f32 v22, s1, 1.0, v3, 1.0
	v_rcp_f32_e32 v11, v9
	v_fma_f32 v19, -v6, v5, 1.0
	v_cndmask_b32_e64 v4, 0, v4, s2
	v_cmp_ngt_f32_e64 s2, 0xc2b17218, v12
	s_waitcnt vmcnt(3)
	v_mul_f32_e32 v12, 0xbfb8aa3b, v13
	v_fmac_f32_e32 v5, v19, v5
	v_fma_f32 v20, -v7, v10, 1.0
	v_cndmask_b32_e64 v4, 0x7f800000, v4, s2
	v_fma_f32 v21, -v9, v11, 1.0
	v_mul_f32_e32 v8, v17, v5
	v_fmac_f32_e32 v10, v20, v10
	v_add_f32_e32 v4, 1.0, v4
	v_fmac_f32_e32 v11, v21, v11
	v_fma_f32 v21, -v6, v8, v17
	v_mul_f32_e32 v19, v18, v10
	v_mul_f32_e32 v20, v22, v11
	v_fmac_f32_e32 v8, v21, v5
	v_fma_f32 v23, -v7, v19, v18
	v_div_scale_f32 v21, null, v4, v4, 1.0
	v_fma_f32 v24, -v9, v20, v22
	v_fma_f32 v6, -v6, v8, v17
	v_fmac_f32_e32 v19, v23, v10
	v_fma_f32 v17, 0xbfb8aa3b, v13, -v12
	v_fmac_f32_e32 v20, v24, v11
	v_div_fmas_f32 v5, v6, v5, v8
	v_fma_f32 v7, -v7, v19, v18
	s_mov_b32 vcc_lo, s0
	v_fmac_f32_e32 v17, 0xb2a5705f, v13
	v_fma_f32 v9, -v9, v20, v22
	v_rndne_f32_e32 v22, v12
	v_div_fmas_f32 v6, v7, v10, v19
	s_mov_b32 vcc_lo, s1
	s_waitcnt vmcnt(2)
	v_mul_f32_e32 v10, 0xbfb8aa3b, v14
	v_div_fmas_f32 v8, v9, v11, v20
	v_sub_f32_e32 v7, v12, v22
	v_div_fixup_f32 v18, v6, v2, 1.0
	v_rcp_f32_e32 v9, v21
	v_rndne_f32_e32 v2, v10
	v_div_fixup_f32 v19, v8, v3, 1.0
	v_add_f32_e32 v7, v7, v17
	v_div_fixup_f32 v17, v5, v1, 1.0
	v_fma_f32 v3, 0xbfb8aa3b, v14, -v10
	s_waitcnt vmcnt(1)
	v_mul_f32_e32 v5, 0xbfb8aa3b, v15
	v_sub_f32_e32 v8, v10, v2
	v_exp_f32_e32 v1, v7
	v_cvt_i32_f32_e32 v7, v22
	v_fmac_f32_e32 v3, 0xb2a5705f, v14
	v_rndne_f32_e32 v10, v5
	v_fma_f32 v11, 0xbfb8aa3b, v15, -v5
	s_waitcnt vmcnt(0)
	v_mul_f32_e32 v12, 0xbfb8aa3b, v16
	v_cmp_nlt_f32_e32 vcc_lo, 0x42ce8ed0, v13
	v_add_f32_e32 v3, v8, v3
	v_sub_f32_e32 v5, v5, v10
	v_fmac_f32_e32 v11, 0xb2a5705f, v15
	v_ldexp_f32 v1, v1, v7
	v_fma_f32 v6, -v21, v9, 1.0
	v_exp_f32_e32 v3, v3
	v_rndne_f32_e32 v7, v12
	v_add_f32_e32 v5, v5, v11
	v_fma_f32 v8, 0xbfb8aa3b, v16, -v12
	v_cndmask_b32_e32 v1, 0, v1, vcc_lo
	v_cmp_ngt_f32_e32 vcc_lo, 0xc2b17218, v13
	v_cvt_i32_f32_e32 v2, v2
	v_exp_f32_e32 v5, v5
	v_sub_f32_e32 v11, v12, v7
	v_fmac_f32_e32 v8, 0xb2a5705f, v16
	v_cndmask_b32_e32 v1, 0x7f800000, v1, vcc_lo
	v_fmac_f32_e32 v9, v6, v9
	v_cvt_i32_f32_e32 v6, v10
	v_ldexp_f32 v2, v3, v2
	v_cmp_nlt_f32_e32 vcc_lo, 0x42ce8ed0, v14
	v_add_f32_e32 v8, v11, v8
	v_add_f32_e32 v1, 1.0, v1
	v_ldexp_f32 v5, v5, v6
	v_cvt_i32_f32_e32 v6, v7
	v_cndmask_b32_e32 v2, 0, v2, vcc_lo
	v_cmp_nlt_f32_e32 vcc_lo, 0x42ce8ed0, v15
	v_exp_f32_e32 v3, v8
	v_div_scale_f32 v8, null, v1, v1, 1.0
	v_cndmask_b32_e32 v5, 0, v5, vcc_lo
	v_cmp_ngt_f32_e32 vcc_lo, 0xc2b17218, v14
	v_cndmask_b32_e32 v2, 0x7f800000, v2, vcc_lo
	v_cmp_ngt_f32_e32 vcc_lo, 0xc2b17218, v15
	v_ldexp_f32 v3, v3, v6
	v_rcp_f32_e32 v6, v8
	v_add_f32_e32 v2, 1.0, v2
	v_cndmask_b32_e32 v5, 0x7f800000, v5, vcc_lo
	v_cmp_nlt_f32_e32 vcc_lo, 0x42ce8ed0, v16
	v_div_scale_f32 v7, null, v2, v2, 1.0
	v_cndmask_b32_e32 v3, 0, v3, vcc_lo
	v_cmp_ngt_f32_e32 vcc_lo, 0xc2b17218, v16
	v_add_f32_e32 v5, 1.0, v5
	v_rcp_f32_e32 v12, v7
	v_fma_f32 v13, -v8, v6, 1.0
	v_cndmask_b32_e32 v3, 0x7f800000, v3, vcc_lo
	v_div_scale_f32 v10, null, v5, v5, 1.0
	v_div_scale_f32 v11, vcc_lo, 1.0, v4, 1.0
	v_add_f32_e32 v3, 1.0, v3
	v_rcp_f32_e32 v14, v10
	v_fma_f32 v20, -v7, v12, 1.0
	v_mul_f32_e32 v15, v11, v9
	v_fmac_f32_e32 v6, v13, v6
	v_div_scale_f32 v16, null, v3, v3, 1.0
	v_div_scale_f32 v13, s0, 1.0, v1, 1.0
	v_fma_f32 v23, -v21, v15, v11
	v_rcp_f32_e32 v22, v16
	v_fma_f32 v24, -v10, v14, 1.0
	v_fmac_f32_e32 v12, v20, v12
	v_div_scale_f32 v20, s1, 1.0, v2, 1.0
	v_mul_f32_e32 v29, v13, v6
	v_fmac_f32_e32 v14, v24, v14
	v_div_scale_f32 v24, s2, 1.0, v5, 1.0
	v_fmac_f32_e32 v15, v23, v9
	v_fma_f32 v30, -v16, v22, 1.0
	v_mul_f32_e32 v31, v20, v12
	v_fma_f32 v23, -v8, v29, v13
	v_mul_f32_e32 v32, v24, v14
	v_fma_f32 v11, -v21, v15, v11
	v_fmac_f32_e32 v22, v30, v22
	v_div_scale_f32 v30, s3, 1.0, v3, 1.0
	v_fma_f32 v21, -v7, v31, v20
	v_fmac_f32_e32 v29, v23, v6
	v_fma_f32 v23, -v10, v32, v24
	v_mul_f32_e32 v33, v30, v22
	v_div_fmas_f32 v9, v11, v9, v15
	v_fmac_f32_e32 v31, v21, v12
	v_fma_f32 v8, -v8, v29, v13
	v_fmac_f32_e32 v32, v23, v14
	v_fma_f32 v11, -v16, v33, v30
	s_mov_b32 vcc_lo, s0
	v_fma_f32 v7, -v7, v31, v20
	v_div_fmas_f32 v6, v8, v6, v29
	v_fma_f32 v8, -v10, v32, v24
	v_fmac_f32_e32 v33, v11, v22
	s_mov_b32 vcc_lo, s1
	v_div_fixup_f32 v20, v9, v4, 1.0
	v_div_fmas_f32 v7, v7, v12, v31
	s_mov_b32 vcc_lo, s2
	v_fma_f32 v10, -v16, v33, v30
	v_div_fmas_f32 v8, v8, v14, v32
	s_mov_b32 vcc_lo, s3
	v_div_fixup_f32 v21, v6, v1, 1.0
	v_div_fmas_f32 v10, v10, v22, v33
	v_div_fixup_f32 v22, v7, v2, 1.0
	v_div_fixup_f32 v23, v8, v5, 1.0
	;; [unrolled: 1-line block ×3, first 2 shown]
.LBB19_8:
	s_waitcnt vmcnt(0)
	v_mov_b32_e32 v9, v17
	v_mov_b32_e32 v10, v18
	v_mov_b32_e32 v11, v19
	v_mov_b32_e32 v12, v20
	v_mov_b32_e32 v13, v21
	v_mov_b32_e32 v14, v22
	v_mov_b32_e32 v15, v23
	v_mov_b32_e32 v16, v24
	s_lshr_b32 s0, s4, 8
	s_cmp_gt_i32 s9, 0
	s_mov_b32 s2, 0
	s_cbranch_scc1 .LBB19_5
.LBB19_9:
	s_bitcmp1_b32 s0, 0
	s_cselect_b32 s1, -1, 0
.LBB19_10:
	v_mov_b32_e32 v8, 0
	v_add_nc_u32_e32 v30, 32, v0
	v_add_nc_u32_e32 v29, 64, v0
	;; [unrolled: 1-line block ×3, first 2 shown]
	v_or_b32_e32 v23, 0x80, v0
	v_add_nc_u32_e32 v22, 0xa0, v0
	v_add_nc_u32_e32 v21, 0xc0, v0
	;; [unrolled: 1-line block ×3, first 2 shown]
	v_mbcnt_lo_u32_b32 v31, -1, 0
	v_mov_b32_e32 v7, v8
	v_mov_b32_e32 v6, v8
	;; [unrolled: 1-line block ×8, first 2 shown]
	s_andn2_b32 vcc_lo, exec_lo, s2
	s_cbranch_vccnz .LBB19_37
; %bb.11:
	v_add_co_u32 v18, vcc_lo, s6, v26
	v_add_co_ci_u32_e64 v19, null, s7, v27, vcc_lo
	v_cmp_o_f32_e32 vcc_lo, v17, v17
	v_xor_b32_e32 v1, 16, v31
	v_xor_b32_e32 v2, 8, v31
	;; [unrolled: 1-line block ×4, first 2 shown]
	v_cndmask_b32_e32 v9, 0xff7fffff, v9, vcc_lo
	s_waitcnt vmcnt(6)
	v_cmp_o_f32_e32 vcc_lo, v10, v10
	v_mov_b32_e32 v32, 0
	s_bitcmp1_b32 s0, 0
	s_mov_b32 s2, 0
	s_cselect_b32 s1, -1, 0
	v_cndmask_b32_e32 v10, 0xff7fffff, v10, vcc_lo
	s_waitcnt vmcnt(5)
	v_cmp_o_f32_e32 vcc_lo, v11, v11
	v_mov_b32_e32 v5, v32
	v_mov_b32_e32 v6, v32
	;; [unrolled: 1-line block ×4, first 2 shown]
	v_cndmask_b32_e32 v11, 0xff7fffff, v11, vcc_lo
	s_waitcnt vmcnt(4)
	v_cmp_o_f32_e32 vcc_lo, v12, v12
	v_cndmask_b32_e32 v12, 0xff7fffff, v12, vcc_lo
	s_waitcnt vmcnt(3)
	v_cmp_o_f32_e32 vcc_lo, v13, v13
	;; [unrolled: 3-line block ×3, first 2 shown]
	v_cndmask_b32_e32 v14, 0xff7fffff, v14, vcc_lo
	v_cmp_gt_i32_e32 vcc_lo, 32, v1
	v_cndmask_b32_e32 v1, v31, v1, vcc_lo
	s_waitcnt vmcnt(1)
	v_cmp_o_f32_e32 vcc_lo, v15, v15
	v_lshlrev_b32_e32 v17, 2, v1
	v_cndmask_b32_e32 v15, 0xff7fffff, v15, vcc_lo
	s_waitcnt vmcnt(0)
	v_cmp_o_f32_e32 vcc_lo, v16, v16
	v_xor_b32_e32 v1, 4, v31
	v_cndmask_b32_e32 v16, 0xff7fffff, v16, vcc_lo
	v_cmp_gt_i32_e32 vcc_lo, 32, v2
	v_cndmask_b32_e32 v2, v31, v2, vcc_lo
	v_cmp_gt_i32_e32 vcc_lo, 32, v1
	v_lshlrev_b32_e32 v26, 2, v2
	v_cndmask_b32_e32 v1, v31, v1, vcc_lo
	v_cmp_gt_i32_e32 vcc_lo, 32, v3
	v_mov_b32_e32 v2, v32
	v_lshlrev_b32_e32 v27, 2, v1
	v_cndmask_b32_e32 v3, v31, v3, vcc_lo
	v_cmp_gt_i32_e32 vcc_lo, 32, v4
	v_mov_b32_e32 v1, 0
	v_lshlrev_b32_e32 v33, 2, v3
	v_cndmask_b32_e32 v4, v31, v4, vcc_lo
	v_mov_b32_e32 v3, v32
	v_lshlrev_b32_e32 v34, 2, v4
	v_mov_b32_e32 v4, v32
	s_branch .LBB19_13
.LBB19_12:                              ;   in Loop: Header=BB19_13 Depth=1
	s_or_b32 exec_lo, exec_lo, s0
	s_and_b32 s0, s2, 31
	s_waitcnt lgkmcnt(0)
	v_mov_b32_e32 v43, v8
	v_mov_b32_e32 v36, v1
	v_cmp_eq_u32_e32 vcc_lo, s0, v0
	s_lshr_b32 m0, s2, 5
	v_mov_b32_e32 v42, v7
	v_mov_b32_e32 v41, v6
	;; [unrolled: 1-line block ×6, first 2 shown]
	v_movreld_b32_e32 v36, v35
	v_cndmask_b32_e32 v1, v1, v36, vcc_lo
	v_cndmask_b32_e32 v2, v2, v37, vcc_lo
	v_cndmask_b32_e32 v3, v3, v38, vcc_lo
	v_cndmask_b32_e32 v4, v4, v39, vcc_lo
	v_cndmask_b32_e32 v5, v5, v40, vcc_lo
	v_cndmask_b32_e32 v6, v6, v41, vcc_lo
	v_cndmask_b32_e32 v7, v7, v42, vcc_lo
	v_cndmask_b32_e32 v8, v8, v43, vcc_lo
	v_add_co_u32 v18, vcc_lo, v18, 4
	v_add_co_ci_u32_e64 v19, null, 0, v19, vcc_lo
	s_add_i32 s2, s2, 1
	s_cmp_eq_u32 s9, s2
	s_cbranch_scc1 .LBB19_37
.LBB19_13:                              ; =>This Inner Loop Header: Depth=1
	v_cmp_gt_f32_e32 vcc_lo, v10, v9
	s_mov_b32 s4, exec_lo
	v_cndmask_b32_e32 v35, v9, v10, vcc_lo
	v_cndmask_b32_e32 v36, v0, v30, vcc_lo
	v_cmp_gt_f32_e64 s0, v11, v35
	v_cndmask_b32_e64 v35, v35, v11, s0
	v_cndmask_b32_e64 v36, v36, v29, s0
	v_cmp_gt_f32_e32 vcc_lo, v12, v35
	v_cndmask_b32_e32 v35, v35, v12, vcc_lo
	v_cndmask_b32_e32 v36, v36, v24, vcc_lo
	v_cmp_gt_f32_e64 s0, v13, v35
	v_cndmask_b32_e64 v35, v35, v13, s0
	v_cndmask_b32_e64 v36, v36, v23, s0
	v_cmp_gt_f32_e32 vcc_lo, v14, v35
	;; [unrolled: 6-line block ×3, first 2 shown]
	v_cndmask_b32_e32 v35, v35, v16, vcc_lo
	v_cndmask_b32_e32 v36, v36, v20, vcc_lo
	ds_bpermute_b32 v37, v17, v35
	ds_bpermute_b32 v38, v17, v36
	s_waitcnt lgkmcnt(1)
	v_cmp_lt_f32_e64 s3, v35, v37
	v_cmpx_nlt_f32_e32 v35, v37
	s_cbranch_execz .LBB19_15
; %bb.14:                               ;   in Loop: Header=BB19_13 Depth=1
	v_cmp_eq_f32_e32 vcc_lo, v35, v37
	s_waitcnt lgkmcnt(0)
	v_cmp_lt_i32_e64 s0, v38, v36
	s_andn2_b32 s3, s3, exec_lo
	s_and_b32 s0, vcc_lo, s0
	s_and_b32 s0, s0, exec_lo
	s_or_b32 s3, s3, s0
.LBB19_15:                              ;   in Loop: Header=BB19_13 Depth=1
	s_or_b32 exec_lo, exec_lo, s4
	s_and_saveexec_b32 s0, s3
	s_cbranch_execz .LBB19_17
; %bb.16:                               ;   in Loop: Header=BB19_13 Depth=1
	v_mov_b32_e32 v35, v37
	s_waitcnt lgkmcnt(0)
	v_mov_b32_e32 v36, v38
.LBB19_17:                              ;   in Loop: Header=BB19_13 Depth=1
	s_or_b32 exec_lo, exec_lo, s0
	s_waitcnt lgkmcnt(0)
	ds_bpermute_b32 v38, v26, v35
	ds_bpermute_b32 v37, v26, v36
	s_mov_b32 s4, exec_lo
	s_waitcnt lgkmcnt(1)
	v_cmp_lt_f32_e64 s3, v35, v38
	v_cmpx_nlt_f32_e32 v35, v38
	s_cbranch_execz .LBB19_19
; %bb.18:                               ;   in Loop: Header=BB19_13 Depth=1
	v_cmp_eq_f32_e32 vcc_lo, v35, v38
	s_waitcnt lgkmcnt(0)
	v_cmp_lt_i32_e64 s0, v37, v36
	s_andn2_b32 s3, s3, exec_lo
	s_and_b32 s0, vcc_lo, s0
	s_and_b32 s0, s0, exec_lo
	s_or_b32 s3, s3, s0
.LBB19_19:                              ;   in Loop: Header=BB19_13 Depth=1
	s_or_b32 exec_lo, exec_lo, s4
	s_and_saveexec_b32 s0, s3
	s_cbranch_execz .LBB19_21
; %bb.20:                               ;   in Loop: Header=BB19_13 Depth=1
	v_mov_b32_e32 v35, v38
	s_waitcnt lgkmcnt(0)
	v_mov_b32_e32 v36, v37
.LBB19_21:                              ;   in Loop: Header=BB19_13 Depth=1
	s_or_b32 exec_lo, exec_lo, s0
	ds_bpermute_b32 v38, v27, v35
	s_waitcnt lgkmcnt(1)
	ds_bpermute_b32 v37, v27, v36
	s_mov_b32 s4, exec_lo
	s_waitcnt lgkmcnt(1)
	v_cmp_lt_f32_e64 s3, v35, v38
	v_cmpx_nlt_f32_e32 v35, v38
	s_cbranch_execz .LBB19_23
; %bb.22:                               ;   in Loop: Header=BB19_13 Depth=1
	v_cmp_eq_f32_e32 vcc_lo, v35, v38
	s_waitcnt lgkmcnt(0)
	v_cmp_lt_i32_e64 s0, v37, v36
	s_andn2_b32 s3, s3, exec_lo
	s_and_b32 s0, vcc_lo, s0
	s_and_b32 s0, s0, exec_lo
	s_or_b32 s3, s3, s0
.LBB19_23:                              ;   in Loop: Header=BB19_13 Depth=1
	s_or_b32 exec_lo, exec_lo, s4
	s_and_saveexec_b32 s0, s3
	s_cbranch_execz .LBB19_25
; %bb.24:                               ;   in Loop: Header=BB19_13 Depth=1
	v_mov_b32_e32 v35, v38
	s_waitcnt lgkmcnt(0)
	v_mov_b32_e32 v36, v37
.LBB19_25:                              ;   in Loop: Header=BB19_13 Depth=1
	s_or_b32 exec_lo, exec_lo, s0
	ds_bpermute_b32 v38, v33, v35
	s_waitcnt lgkmcnt(1)
	ds_bpermute_b32 v37, v33, v36
	s_mov_b32 s4, exec_lo
	s_waitcnt lgkmcnt(1)
	v_cmp_lt_f32_e64 s3, v35, v38
	v_cmpx_nlt_f32_e32 v35, v38
	s_cbranch_execz .LBB19_27
; %bb.26:                               ;   in Loop: Header=BB19_13 Depth=1
	v_cmp_eq_f32_e32 vcc_lo, v35, v38
	s_waitcnt lgkmcnt(0)
	v_cmp_lt_i32_e64 s0, v37, v36
	s_andn2_b32 s3, s3, exec_lo
	s_and_b32 s0, vcc_lo, s0
	s_and_b32 s0, s0, exec_lo
	s_or_b32 s3, s3, s0
.LBB19_27:                              ;   in Loop: Header=BB19_13 Depth=1
	s_or_b32 exec_lo, exec_lo, s4
	s_and_saveexec_b32 s0, s3
	s_cbranch_execz .LBB19_29
; %bb.28:                               ;   in Loop: Header=BB19_13 Depth=1
	v_mov_b32_e32 v35, v38
	s_waitcnt lgkmcnt(0)
	v_mov_b32_e32 v36, v37
.LBB19_29:                              ;   in Loop: Header=BB19_13 Depth=1
	s_or_b32 exec_lo, exec_lo, s0
	s_waitcnt lgkmcnt(0)
	ds_bpermute_b32 v37, v34, v35
	ds_bpermute_b32 v38, v34, v36
	s_mov_b32 s4, exec_lo
	s_waitcnt lgkmcnt(1)
	v_cmp_lt_f32_e64 s3, v35, v37
	v_cmpx_nlt_f32_e32 v35, v37
	s_cbranch_execz .LBB19_31
; %bb.30:                               ;   in Loop: Header=BB19_13 Depth=1
	v_cmp_eq_f32_e32 vcc_lo, v35, v37
	s_waitcnt lgkmcnt(0)
	v_cmp_lt_i32_e64 s0, v38, v36
	s_andn2_b32 s3, s3, exec_lo
	s_and_b32 s0, vcc_lo, s0
	s_and_b32 s0, s0, exec_lo
	s_or_b32 s3, s3, s0
.LBB19_31:                              ;   in Loop: Header=BB19_13 Depth=1
	s_or_b32 exec_lo, exec_lo, s4
	s_and_saveexec_b32 s0, s3
	s_cbranch_execz .LBB19_33
; %bb.32:                               ;   in Loop: Header=BB19_13 Depth=1
	v_mov_b32_e32 v35, v37
	s_waitcnt lgkmcnt(0)
	v_mov_b32_e32 v36, v38
.LBB19_33:                              ;   in Loop: Header=BB19_13 Depth=1
	s_or_b32 exec_lo, exec_lo, s0
	v_and_b32_e32 v37, 31, v36
	v_cmp_eq_u32_e32 vcc_lo, v37, v0
	s_and_saveexec_b32 s3, vcc_lo
	s_cbranch_execz .LBB19_35
; %bb.34:                               ;   in Loop: Header=BB19_13 Depth=1
	v_ashrrev_i32_e32 v37, 31, v36
	v_lshrrev_b32_e32 v37, 27, v37
	v_add_nc_u32_e32 v37, v36, v37
	v_ashrrev_i32_e32 v37, 5, v37
	v_cmp_ne_u32_e64 s0, 7, v37
	v_cndmask_b32_e64 v16, 0xff800000, v16, s0
	v_cmp_ne_u32_e64 s0, 6, v37
	v_cndmask_b32_e64 v15, 0xff800000, v15, s0
	;; [unrolled: 2-line block ×8, first 2 shown]
.LBB19_35:                              ;   in Loop: Header=BB19_13 Depth=1
	s_or_b32 exec_lo, exec_lo, s3
	s_and_saveexec_b32 s0, vcc_lo
	s_cbranch_execz .LBB19_12
; %bb.36:                               ;   in Loop: Header=BB19_13 Depth=1
	v_add_f32_e32 v37, v32, v35
	global_store_dword v[18:19], v36, off
	v_cndmask_b32_e64 v32, v32, v37, s1
	s_branch .LBB19_12
.LBB19_37:
	s_and_b32 vcc_lo, exec_lo, s1
	s_cbranch_vccz .LBB19_39
; %bb.38:
	v_xor_b32_e32 v9, 16, v31
	s_waitcnt vmcnt(6)
	v_xor_b32_e32 v10, 8, v31
	s_waitcnt vmcnt(5)
	v_xor_b32_e32 v11, 4, v31
	v_cmp_gt_i32_e32 vcc_lo, 32, v9
	v_cndmask_b32_e32 v9, v31, v9, vcc_lo
	v_cmp_gt_i32_e32 vcc_lo, 32, v10
	v_lshlrev_b32_e32 v9, 2, v9
	v_cndmask_b32_e32 v10, v31, v10, vcc_lo
	v_cmp_gt_i32_e32 vcc_lo, 32, v11
	ds_bpermute_b32 v9, v9, v32
	v_lshlrev_b32_e32 v10, 2, v10
	v_cndmask_b32_e32 v11, v31, v11, vcc_lo
	v_lshlrev_b32_e32 v11, 2, v11
	s_waitcnt lgkmcnt(0)
	v_add_f32_e32 v9, v32, v9
	ds_bpermute_b32 v10, v10, v9
	s_waitcnt lgkmcnt(0)
	v_add_f32_e32 v9, v9, v10
	ds_bpermute_b32 v10, v11, v9
	v_xor_b32_e32 v11, 2, v31
	v_cmp_gt_i32_e32 vcc_lo, 32, v11
	v_cndmask_b32_e32 v11, v31, v11, vcc_lo
	v_lshlrev_b32_e32 v11, 2, v11
	s_waitcnt lgkmcnt(0)
	v_add_f32_e32 v9, v9, v10
	ds_bpermute_b32 v10, v11, v9
	v_xor_b32_e32 v11, 1, v31
	v_cmp_gt_i32_e32 vcc_lo, 32, v11
	v_cndmask_b32_e32 v11, v31, v11, vcc_lo
	v_lshlrev_b32_e32 v11, 2, v11
	s_waitcnt lgkmcnt(0)
	v_add_f32_e32 v9, v9, v10
	ds_bpermute_b32 v10, v11, v9
	v_max_f32_e64 v11, s10, s10
	s_waitcnt lgkmcnt(0)
	v_add_f32_e32 v9, v9, v10
	v_max_f32_e32 v9, v9, v11
	v_div_scale_f32 v10, null, v9, v9, 1.0
	s_waitcnt vmcnt(3)
	v_div_scale_f32 v13, vcc_lo, 1.0, v9, 1.0
	v_rcp_f32_e32 v11, v10
	v_fma_f32 v12, -v10, v11, 1.0
	v_fmac_f32_e32 v11, v12, v11
	v_mul_f32_e32 v12, v13, v11
	s_waitcnt vmcnt(2)
	v_fma_f32 v14, -v10, v12, v13
	v_fmac_f32_e32 v12, v14, v11
	v_fma_f32 v10, -v10, v12, v13
	v_div_fmas_f32 v10, v10, v11, v12
	v_div_fixup_f32 v9, v10, v9, 1.0
	v_mul_f32_e32 v1, v9, v1
	v_mul_f32_e32 v2, v9, v2
	;; [unrolled: 1-line block ×8, first 2 shown]
.LBB19_39:
	v_cmp_gt_i32_e64 s0, s9, v30
	v_cmp_gt_i32_e64 s1, s9, v29
	;; [unrolled: 1-line block ×8, first 2 shown]
	s_andn2_b32 vcc_lo, exec_lo, s8
	s_cbranch_vccnz .LBB19_41
; %bb.40:
	v_max_f32_e32 v9, v1, v1
	s_waitcnt vmcnt(6)
	v_max_f32_e32 v10, v2, v2
	s_waitcnt vmcnt(5)
	;; [unrolled: 2-line block ×3, first 2 shown]
	v_xor_b32_e32 v13, 4, v31
	s_waitcnt vmcnt(2)
	v_xor_b32_e32 v14, 2, v31
	v_max_f32_e32 v9, 0xff800000, v9
	s_waitcnt vmcnt(1)
	v_xor_b32_e32 v15, 1, v31
	v_cndmask_b32_e64 v9, 0xff800000, v9, s7
	v_max_f32_e32 v10, v9, v10
	v_cndmask_b32_e64 v9, v9, v10, s0
	v_max_f32_e32 v10, v9, v11
	v_max_f32_e32 v11, v4, v4
	v_cndmask_b32_e64 v9, v9, v10, s1
	v_max_f32_e32 v10, v9, v11
	;; [unrolled: 3-line block ×3, first 2 shown]
	v_cndmask_b32_e64 v9, v9, v10, s3
	v_max_f32_e32 v10, v6, v6
	v_max_f32_e32 v11, v9, v9
	;; [unrolled: 1-line block ×3, first 2 shown]
	v_cndmask_b32_e64 v9, v9, v10, s4
	v_max_f32_e32 v10, v7, v7
	v_max_f32_e32 v11, v9, v9
	;; [unrolled: 1-line block ×4, first 2 shown]
	v_cndmask_b32_e64 v9, v9, v10, s5
	v_xor_b32_e32 v10, 16, v31
	v_max_f32_e32 v12, v9, v9
	v_cmp_gt_i32_e32 vcc_lo, 32, v10
	v_max_f32_e32 v11, v12, v11
	v_cndmask_b32_e32 v10, v31, v10, vcc_lo
	v_xor_b32_e32 v12, 8, v31
	v_cndmask_b32_e64 v9, v9, v11, s6
	v_lshlrev_b32_e32 v10, 2, v10
	v_cmp_gt_i32_e32 vcc_lo, 32, v12
	ds_bpermute_b32 v11, v10, v9
	v_cndmask_b32_e32 v12, v31, v12, vcc_lo
	v_max_f32_e32 v9, v9, v9
	v_cmp_gt_i32_e32 vcc_lo, 32, v13
	v_lshlrev_b32_e32 v12, 2, v12
	v_cndmask_b32_e32 v13, v31, v13, vcc_lo
	v_cmp_gt_i32_e32 vcc_lo, 32, v14
	v_lshlrev_b32_e32 v13, 2, v13
	v_cndmask_b32_e32 v14, v31, v14, vcc_lo
	v_cmp_gt_i32_e32 vcc_lo, 32, v15
	v_lshlrev_b32_e32 v14, 2, v14
	s_waitcnt lgkmcnt(0)
	v_max_f32_e32 v11, v11, v11
	v_cndmask_b32_e32 v15, v31, v15, vcc_lo
	v_max_f32_e32 v9, v9, v11
	v_lshlrev_b32_e32 v15, 2, v15
	ds_bpermute_b32 v11, v12, v9
	s_waitcnt lgkmcnt(0)
	v_max_f32_e32 v11, v11, v11
	v_max_f32_e32 v9, v9, v11
	ds_bpermute_b32 v11, v13, v9
	s_waitcnt lgkmcnt(0)
	v_max_f32_e32 v11, v11, v11
	v_max_f32_e32 v9, v9, v11
	;; [unrolled: 4-line block ×4, first 2 shown]
	v_sub_f32_e32 v1, v1, v9
	v_sub_f32_e32 v2, v2, v9
	v_sub_f32_e32 v3, v3, v9
	v_sub_f32_e32 v4, v4, v9
	v_sub_f32_e32 v5, v5, v9
	v_sub_f32_e32 v6, v6, v9
	v_sub_f32_e32 v7, v7, v9
	v_sub_f32_e32 v8, v8, v9
	v_mul_f32_e32 v9, 0x3fb8aa3b, v1
	v_mul_f32_e32 v11, 0x3fb8aa3b, v2
	s_waitcnt vmcnt(0)
	v_mul_f32_e32 v16, 0x3fb8aa3b, v3
	v_mul_f32_e32 v17, 0x3fb8aa3b, v4
	v_cmp_ngt_f32_e32 vcc_lo, 0xc2ce8ed0, v1
	v_fma_f32 v31, 0x3fb8aa3b, v1, -v9
	v_rndne_f32_e32 v32, v9
	v_fma_f32 v33, 0x3fb8aa3b, v2, -v11
	v_rndne_f32_e32 v34, v11
	v_fma_f32 v35, 0x3fb8aa3b, v3, -v16
	v_fmac_f32_e32 v31, 0x32a5705f, v1
	v_sub_f32_e32 v9, v9, v32
	v_fmac_f32_e32 v33, 0x32a5705f, v2
	v_sub_f32_e32 v11, v11, v34
	v_rndne_f32_e32 v36, v16
	v_cvt_i32_f32_e32 v32, v32
	v_add_f32_e32 v9, v9, v31
	v_cvt_i32_f32_e32 v34, v34
	v_add_f32_e32 v11, v11, v33
	v_fmac_f32_e32 v35, 0x32a5705f, v3
	v_sub_f32_e32 v16, v16, v36
	v_exp_f32_e32 v9, v9
	v_fma_f32 v37, 0x3fb8aa3b, v4, -v17
	v_exp_f32_e32 v11, v11
	v_rndne_f32_e32 v38, v17
	v_add_f32_e32 v16, v16, v35
	v_mul_f32_e32 v18, 0x3fb8aa3b, v5
	v_fmac_f32_e32 v37, 0x32a5705f, v4
	v_cvt_i32_f32_e32 v31, v36
	v_sub_f32_e32 v17, v17, v38
	v_exp_f32_e32 v16, v16
	v_ldexp_f32 v9, v9, v32
	v_fma_f32 v39, 0x3fb8aa3b, v5, -v18
	v_ldexp_f32 v11, v11, v34
	v_rndne_f32_e32 v40, v18
	v_add_f32_e32 v17, v17, v37
	v_cndmask_b32_e32 v9, 0, v9, vcc_lo
	v_cmp_ngt_f32_e32 vcc_lo, 0xc2ce8ed0, v2
	v_mul_f32_e32 v19, 0x3fb8aa3b, v6
	v_fmac_f32_e32 v39, 0x32a5705f, v5
	v_sub_f32_e32 v18, v18, v40
	v_ldexp_f32 v16, v16, v31
	v_cndmask_b32_e32 v11, 0, v11, vcc_lo
	v_cmp_nlt_f32_e32 vcc_lo, 0x42b17218, v1
	v_fma_f32 v41, 0x3fb8aa3b, v6, -v19
	v_rndne_f32_e32 v42, v19
	v_cvt_i32_f32_e32 v33, v38
	v_mul_f32_e32 v26, 0x3fb8aa3b, v7
	v_cndmask_b32_e32 v1, 0x7f800000, v9, vcc_lo
	v_cmp_nlt_f32_e32 vcc_lo, 0x42b17218, v2
	v_exp_f32_e32 v9, v17
	v_fmac_f32_e32 v41, 0x32a5705f, v6
	v_sub_f32_e32 v19, v19, v42
	v_cndmask_b32_e64 v1, 0, v1, s7
	v_cndmask_b32_e32 v2, 0x7f800000, v11, vcc_lo
	v_cmp_ngt_f32_e32 vcc_lo, 0xc2ce8ed0, v3
	v_add_f32_e32 v11, v18, v39
	v_fma_f32 v43, 0x3fb8aa3b, v7, -v26
	v_rndne_f32_e32 v44, v26
	v_add_f32_e32 v18, v2, v1
	v_cndmask_b32_e32 v16, 0, v16, vcc_lo
	v_cmp_nlt_f32_e32 vcc_lo, 0x42b17218, v3
	v_exp_f32_e32 v11, v11
	v_ldexp_f32 v9, v9, v33
	v_cvt_i32_f32_e32 v36, v40
	v_mul_f32_e32 v27, 0x3fb8aa3b, v8
	v_cndmask_b32_e32 v3, 0x7f800000, v16, vcc_lo
	v_cndmask_b32_e64 v16, v1, v18, s0
	v_cmp_ngt_f32_e32 vcc_lo, 0xc2ce8ed0, v4
	v_add_f32_e32 v18, v19, v41
	v_fmac_f32_e32 v43, 0x32a5705f, v7
	v_sub_f32_e32 v17, v26, v44
	v_add_f32_e32 v19, v16, v3
	v_cndmask_b32_e32 v9, 0, v9, vcc_lo
	v_cmp_nlt_f32_e32 vcc_lo, 0x42b17218, v4
	v_exp_f32_e32 v18, v18
	v_ldexp_f32 v11, v11, v36
	v_fma_f32 v45, 0x3fb8aa3b, v8, -v27
	v_rndne_f32_e32 v46, v27
	v_cndmask_b32_e32 v4, 0x7f800000, v9, vcc_lo
	v_cndmask_b32_e64 v9, v16, v19, s1
	v_cmp_ngt_f32_e32 vcc_lo, 0xc2ce8ed0, v5
	v_cvt_i32_f32_e32 v35, v42
	v_add_f32_e32 v16, v17, v43
	v_fmac_f32_e32 v45, 0x32a5705f, v8
	v_add_f32_e32 v19, v9, v4
	v_cndmask_b32_e32 v11, 0, v11, vcc_lo
	v_cmp_nlt_f32_e32 vcc_lo, 0x42b17218, v5
	v_sub_f32_e32 v17, v27, v46
	v_exp_f32_e32 v16, v16
	v_ldexp_f32 v18, v18, v35
	v_cndmask_b32_e64 v9, v9, v19, s2
	v_cndmask_b32_e32 v5, 0x7f800000, v11, vcc_lo
	v_cmp_ngt_f32_e32 vcc_lo, 0xc2ce8ed0, v6
	v_add_f32_e32 v11, v17, v45
	v_cvt_i32_f32_e32 v17, v44
	v_cndmask_b32_e64 v2, 0, v2, s0
	v_add_f32_e32 v19, v9, v5
	v_cndmask_b32_e32 v18, 0, v18, vcc_lo
	v_cmp_nlt_f32_e32 vcc_lo, 0x42b17218, v6
	v_exp_f32_e32 v11, v11
	v_ldexp_f32 v16, v16, v17
	v_cndmask_b32_e64 v9, v9, v19, s3
	v_cvt_i32_f32_e32 v17, v46
	v_cndmask_b32_e32 v6, 0x7f800000, v18, vcc_lo
	v_cmp_ngt_f32_e32 vcc_lo, 0xc2ce8ed0, v7
	v_cndmask_b32_e64 v3, 0, v3, s1
	v_cndmask_b32_e64 v4, 0, v4, s2
	;; [unrolled: 1-line block ×3, first 2 shown]
	v_add_f32_e32 v18, v9, v6
	v_cndmask_b32_e32 v16, 0, v16, vcc_lo
	v_cmp_nlt_f32_e32 vcc_lo, 0x42b17218, v7
	v_ldexp_f32 v11, v11, v17
	v_cndmask_b32_e64 v6, 0, v6, s4
	v_cndmask_b32_e64 v9, v9, v18, s4
	v_cndmask_b32_e32 v7, 0x7f800000, v16, vcc_lo
	v_cmp_ngt_f32_e32 vcc_lo, 0xc2ce8ed0, v8
	v_add_f32_e32 v16, v9, v7
	v_cndmask_b32_e32 v11, 0, v11, vcc_lo
	v_cmp_nlt_f32_e32 vcc_lo, 0x42b17218, v8
	v_cndmask_b32_e64 v7, 0, v7, s5
	v_cndmask_b32_e64 v9, v9, v16, s5
	v_cndmask_b32_e32 v8, 0x7f800000, v11, vcc_lo
	v_add_f32_e32 v11, v9, v8
	v_cndmask_b32_e64 v8, 0, v8, s6
	v_cndmask_b32_e64 v9, v9, v11, s6
	ds_bpermute_b32 v10, v10, v9
	s_waitcnt lgkmcnt(0)
	v_add_f32_e32 v9, v9, v10
	ds_bpermute_b32 v10, v12, v9
	s_waitcnt lgkmcnt(0)
	v_add_f32_e32 v9, v9, v10
	;; [unrolled: 3-line block ×5, first 2 shown]
	v_div_scale_f32 v10, null, v9, v9, 1.0
	v_div_scale_f32 v13, vcc_lo, 1.0, v9, 1.0
	v_rcp_f32_e32 v11, v10
	v_fma_f32 v12, -v10, v11, 1.0
	v_fmac_f32_e32 v11, v12, v11
	v_mul_f32_e32 v12, v13, v11
	v_fma_f32 v14, -v10, v12, v13
	v_fmac_f32_e32 v12, v14, v11
	v_fma_f32 v10, -v10, v12, v13
	v_div_fmas_f32 v10, v10, v11, v12
	v_div_fixup_f32 v9, v10, v9, 1.0
	v_mul_f32_e32 v10, v1, v9
	v_mul_f32_e32 v11, v2, v9
	;; [unrolled: 1-line block ×8, first 2 shown]
	v_cndmask_b32_e64 v1, v1, v10, s7
	v_cndmask_b32_e64 v2, v2, v11, s0
	;; [unrolled: 1-line block ×8, first 2 shown]
.LBB19_41:
	v_mul_lo_u32 v9, v25, s9
	s_mov_b32 s0, exec_lo
	s_waitcnt vmcnt(6)
	v_ashrrev_i32_e32 v10, 31, v9
	v_lshlrev_b64 v[9:10], 2, v[9:10]
	v_add_co_u32 v9, vcc_lo, s14, v9
	v_add_co_ci_u32_e64 v10, null, s15, v10, vcc_lo
	v_cmpx_gt_i32_e64 s9, v0
	s_cbranch_execnz .LBB19_51
; %bb.42:
	s_or_b32 exec_lo, exec_lo, s0
	s_mov_b32 s0, exec_lo
	v_cmpx_gt_i32_e64 s9, v30
	s_cbranch_execnz .LBB19_52
.LBB19_43:
	s_or_b32 exec_lo, exec_lo, s0
	s_mov_b32 s0, exec_lo
	v_cmpx_gt_i32_e64 s9, v29
	s_cbranch_execnz .LBB19_53
.LBB19_44:
	s_or_b32 exec_lo, exec_lo, s0
	s_mov_b32 s0, exec_lo
	v_cmpx_gt_i32_e64 s9, v24
	s_cbranch_execnz .LBB19_54
.LBB19_45:
	s_or_b32 exec_lo, exec_lo, s0
	s_mov_b32 s0, exec_lo
	v_cmpx_gt_i32_e64 s9, v23
	s_cbranch_execnz .LBB19_55
.LBB19_46:
	s_or_b32 exec_lo, exec_lo, s0
	s_mov_b32 s0, exec_lo
	v_cmpx_gt_i32_e64 s9, v22
	s_cbranch_execnz .LBB19_56
.LBB19_47:
	s_or_b32 exec_lo, exec_lo, s0
	s_mov_b32 s0, exec_lo
	v_cmpx_gt_i32_e64 s9, v21
	s_cbranch_execnz .LBB19_57
.LBB19_48:
	s_or_b32 exec_lo, exec_lo, s0
	v_cmp_gt_i32_e32 vcc_lo, s9, v20
	s_and_b32 exec_lo, exec_lo, vcc_lo
	s_cbranch_execz .LBB19_50
.LBB19_49:
	v_add_co_u32 v0, vcc_lo, v9, v28
	v_add_co_ci_u32_e64 v1, null, 0, v10, vcc_lo
	v_mul_f32_e32 v2, s11, v8
	global_store_dword v[0:1], v2, off offset:896
.LBB19_50:
	s_endpgm
.LBB19_51:
	s_waitcnt vmcnt(5)
	v_add_co_u32 v11, vcc_lo, v9, v28
	s_waitcnt vmcnt(4)
	v_add_co_ci_u32_e64 v12, null, 0, v10, vcc_lo
	v_mul_f32_e32 v0, s11, v1
	global_store_dword v[11:12], v0, off
	s_or_b32 exec_lo, exec_lo, s0
	s_mov_b32 s0, exec_lo
	v_cmpx_gt_i32_e64 s9, v30
	s_cbranch_execz .LBB19_43
.LBB19_52:
	v_add_co_u32 v0, vcc_lo, v9, v28
	v_add_co_ci_u32_e64 v1, null, 0, v10, vcc_lo
	v_mul_f32_e32 v2, s11, v2
	global_store_dword v[0:1], v2, off offset:128
	s_or_b32 exec_lo, exec_lo, s0
	s_mov_b32 s0, exec_lo
	v_cmpx_gt_i32_e64 s9, v29
	s_cbranch_execz .LBB19_44
.LBB19_53:
	v_add_co_u32 v0, vcc_lo, v9, v28
	v_add_co_ci_u32_e64 v1, null, 0, v10, vcc_lo
	v_mul_f32_e32 v2, s11, v3
	global_store_dword v[0:1], v2, off offset:256
	s_or_b32 exec_lo, exec_lo, s0
	s_mov_b32 s0, exec_lo
	v_cmpx_gt_i32_e64 s9, v24
	s_cbranch_execz .LBB19_45
.LBB19_54:
	v_add_co_u32 v0, vcc_lo, v9, v28
	v_add_co_ci_u32_e64 v1, null, 0, v10, vcc_lo
	v_mul_f32_e32 v2, s11, v4
	global_store_dword v[0:1], v2, off offset:384
	s_or_b32 exec_lo, exec_lo, s0
	s_mov_b32 s0, exec_lo
	v_cmpx_gt_i32_e64 s9, v23
	s_cbranch_execz .LBB19_46
.LBB19_55:
	v_add_co_u32 v0, vcc_lo, v9, v28
	v_add_co_ci_u32_e64 v1, null, 0, v10, vcc_lo
	v_mul_f32_e32 v2, s11, v5
	global_store_dword v[0:1], v2, off offset:512
	s_or_b32 exec_lo, exec_lo, s0
	s_mov_b32 s0, exec_lo
	v_cmpx_gt_i32_e64 s9, v22
	s_cbranch_execz .LBB19_47
.LBB19_56:
	v_add_co_u32 v0, vcc_lo, v9, v28
	v_add_co_ci_u32_e64 v1, null, 0, v10, vcc_lo
	v_mul_f32_e32 v2, s11, v6
	global_store_dword v[0:1], v2, off offset:640
	s_or_b32 exec_lo, exec_lo, s0
	s_mov_b32 s0, exec_lo
	v_cmpx_gt_i32_e64 s9, v21
	s_cbranch_execz .LBB19_48
.LBB19_57:
	v_add_co_u32 v0, vcc_lo, v9, v28
	v_add_co_ci_u32_e64 v1, null, 0, v10, vcc_lo
	v_mul_f32_e32 v2, s11, v7
	global_store_dword v[0:1], v2, off offset:768
	s_or_b32 exec_lo, exec_lo, s0
	v_cmp_gt_i32_e32 vcc_lo, s9, v20
	s_and_b32 exec_lo, exec_lo, vcc_lo
	s_cbranch_execnz .LBB19_49
	s_branch .LBB19_50
	.section	.rodata,"a",@progbits
	.p2align	6, 0x0
	.amdhsa_kernel _Z13topk_moe_cudaILi256ELb0EEvPKfPfPiS2_iiff15topk_moe_config
		.amdhsa_group_segment_fixed_size 0
		.amdhsa_private_segment_fixed_size 0
		.amdhsa_kernarg_size 312
		.amdhsa_user_sgpr_count 6
		.amdhsa_user_sgpr_private_segment_buffer 1
		.amdhsa_user_sgpr_dispatch_ptr 0
		.amdhsa_user_sgpr_queue_ptr 0
		.amdhsa_user_sgpr_kernarg_segment_ptr 1
		.amdhsa_user_sgpr_dispatch_id 0
		.amdhsa_user_sgpr_flat_scratch_init 0
		.amdhsa_user_sgpr_private_segment_size 0
		.amdhsa_wavefront_size32 1
		.amdhsa_uses_dynamic_stack 0
		.amdhsa_system_sgpr_private_segment_wavefront_offset 0
		.amdhsa_system_sgpr_workgroup_id_x 1
		.amdhsa_system_sgpr_workgroup_id_y 0
		.amdhsa_system_sgpr_workgroup_id_z 0
		.amdhsa_system_sgpr_workgroup_info 0
		.amdhsa_system_vgpr_workitem_id 1
		.amdhsa_next_free_vgpr 50
		.amdhsa_next_free_sgpr 16
		.amdhsa_reserve_vcc 1
		.amdhsa_reserve_flat_scratch 0
		.amdhsa_float_round_mode_32 0
		.amdhsa_float_round_mode_16_64 0
		.amdhsa_float_denorm_mode_32 3
		.amdhsa_float_denorm_mode_16_64 3
		.amdhsa_dx10_clamp 1
		.amdhsa_ieee_mode 1
		.amdhsa_fp16_overflow 0
		.amdhsa_workgroup_processor_mode 1
		.amdhsa_memory_ordered 1
		.amdhsa_forward_progress 1
		.amdhsa_shared_vgpr_count 0
		.amdhsa_exception_fp_ieee_invalid_op 0
		.amdhsa_exception_fp_denorm_src 0
		.amdhsa_exception_fp_ieee_div_zero 0
		.amdhsa_exception_fp_ieee_overflow 0
		.amdhsa_exception_fp_ieee_underflow 0
		.amdhsa_exception_fp_ieee_inexact 0
		.amdhsa_exception_int_div_zero 0
	.end_amdhsa_kernel
	.section	.text._Z13topk_moe_cudaILi256ELb0EEvPKfPfPiS2_iiff15topk_moe_config,"axG",@progbits,_Z13topk_moe_cudaILi256ELb0EEvPKfPfPiS2_iiff15topk_moe_config,comdat
.Lfunc_end19:
	.size	_Z13topk_moe_cudaILi256ELb0EEvPKfPfPiS2_iiff15topk_moe_config, .Lfunc_end19-_Z13topk_moe_cudaILi256ELb0EEvPKfPfPiS2_iiff15topk_moe_config
                                        ; -- End function
	.set _Z13topk_moe_cudaILi256ELb0EEvPKfPfPiS2_iiff15topk_moe_config.num_vgpr, 50
	.set _Z13topk_moe_cudaILi256ELb0EEvPKfPfPiS2_iiff15topk_moe_config.num_agpr, 0
	.set _Z13topk_moe_cudaILi256ELb0EEvPKfPfPiS2_iiff15topk_moe_config.numbered_sgpr, 16
	.set _Z13topk_moe_cudaILi256ELb0EEvPKfPfPiS2_iiff15topk_moe_config.num_named_barrier, 0
	.set _Z13topk_moe_cudaILi256ELb0EEvPKfPfPiS2_iiff15topk_moe_config.private_seg_size, 0
	.set _Z13topk_moe_cudaILi256ELb0EEvPKfPfPiS2_iiff15topk_moe_config.uses_vcc, 1
	.set _Z13topk_moe_cudaILi256ELb0EEvPKfPfPiS2_iiff15topk_moe_config.uses_flat_scratch, 0
	.set _Z13topk_moe_cudaILi256ELb0EEvPKfPfPiS2_iiff15topk_moe_config.has_dyn_sized_stack, 0
	.set _Z13topk_moe_cudaILi256ELb0EEvPKfPfPiS2_iiff15topk_moe_config.has_recursion, 0
	.set _Z13topk_moe_cudaILi256ELb0EEvPKfPfPiS2_iiff15topk_moe_config.has_indirect_call, 0
	.section	.AMDGPU.csdata,"",@progbits
; Kernel info:
; codeLenInByte = 6624
; TotalNumSgprs: 18
; NumVgprs: 50
; ScratchSize: 0
; MemoryBound: 0
; FloatMode: 240
; IeeeMode: 1
; LDSByteSize: 0 bytes/workgroup (compile time only)
; SGPRBlocks: 0
; VGPRBlocks: 6
; NumSGPRsForWavesPerEU: 18
; NumVGPRsForWavesPerEU: 50
; Occupancy: 16
; WaveLimiterHint : 1
; COMPUTE_PGM_RSRC2:SCRATCH_EN: 0
; COMPUTE_PGM_RSRC2:USER_SGPR: 6
; COMPUTE_PGM_RSRC2:TRAP_HANDLER: 0
; COMPUTE_PGM_RSRC2:TGID_X_EN: 1
; COMPUTE_PGM_RSRC2:TGID_Y_EN: 0
; COMPUTE_PGM_RSRC2:TGID_Z_EN: 0
; COMPUTE_PGM_RSRC2:TIDIG_COMP_CNT: 1
	.section	.text._Z13topk_moe_cudaILi512ELb0EEvPKfPfPiS2_iiff15topk_moe_config,"axG",@progbits,_Z13topk_moe_cudaILi512ELb0EEvPKfPfPiS2_iiff15topk_moe_config,comdat
	.protected	_Z13topk_moe_cudaILi512ELb0EEvPKfPfPiS2_iiff15topk_moe_config ; -- Begin function _Z13topk_moe_cudaILi512ELb0EEvPKfPfPiS2_iiff15topk_moe_config
	.globl	_Z13topk_moe_cudaILi512ELb0EEvPKfPfPiS2_iiff15topk_moe_config
	.p2align	8
	.type	_Z13topk_moe_cudaILi512ELb0EEvPKfPfPiS2_iiff15topk_moe_config,@function
_Z13topk_moe_cudaILi512ELb0EEvPKfPfPiS2_iiff15topk_moe_config: ; @_Z13topk_moe_cudaILi512ELb0EEvPKfPfPiS2_iiff15topk_moe_config
; %bb.0:
	s_clause 0x1
	s_load_dword s0, s[4:5], 0x44
	s_load_dwordx4 s[44:47], s[4:5], 0x20
	s_waitcnt lgkmcnt(0)
	s_lshr_b32 s0, s0, 16
	v_mad_u64_u32 v[34:35], null, s6, s0, v[1:2]
	s_mov_b32 s0, exec_lo
	v_cmpx_gt_i32_e64 s44, v34
	s_cbranch_execz .LBB20_59
; %bb.1:
	s_clause 0x1
	s_load_dwordx4 s[48:51], s[4:5], 0x0
	s_load_dwordx2 s[6:7], s[4:5], 0x10
	v_lshlrev_b32_e32 v1, 9, v34
	v_lshlrev_b32_e32 v37, 2, v0
	v_mov_b32_e32 v5, 0
	s_load_dword s0, s[4:5], 0x30
	v_ashrrev_i32_e32 v2, 31, v1
	v_lshlrev_b64 v[1:2], 2, v[1:2]
	s_waitcnt lgkmcnt(0)
	v_add_co_u32 v3, vcc_lo, s48, v1
	v_add_co_ci_u32_e64 v4, null, s49, v2, vcc_lo
	v_add_co_u32 v20, vcc_lo, v3, v37
	v_add_co_ci_u32_e64 v21, null, 0, v4, vcc_lo
	global_load_ushort v19, v5, s[4:5] offset:48
	s_clause 0xf
	global_load_dword v18, v[20:21], off
	global_load_dword v17, v[20:21], off offset:128
	global_load_dword v16, v[20:21], off offset:256
	;; [unrolled: 1-line block ×15, first 2 shown]
	s_waitcnt vmcnt(16)
	v_readfirstlane_b32 s1, v19
	s_and_b32 s4, 0xffff, s1
	s_bitcmp1_b32 s0, 16
	s_cselect_b32 s16, -1, 0
	s_and_b32 vcc_lo, exec_lo, s16
	s_cbranch_vccnz .LBB20_7
; %bb.2:
	v_and_b32_e32 v19, 1, v19
	s_mov_b32 s0, 0
	v_cmp_eq_u32_e32 vcc_lo, 0, v19
	s_cbranch_vccz .LBB20_4
; %bb.3:
	s_waitcnt vmcnt(14)
	v_max3_f32 v19, v18, 0xff800000, v17
	v_mbcnt_lo_u32_b32 v23, -1, 0
	s_waitcnt vmcnt(12)
	v_max3_f32 v19, v19, v16, v15
	v_xor_b32_e32 v20, 16, v23
	v_xor_b32_e32 v22, 8, v23
	s_waitcnt vmcnt(10)
	v_max3_f32 v19, v19, v14, v13
	v_cmp_gt_i32_e32 vcc_lo, 32, v20
	s_waitcnt vmcnt(8)
	v_max3_f32 v19, v19, v12, v11
	v_cndmask_b32_e32 v20, v23, v20, vcc_lo
	v_cmp_gt_i32_e32 vcc_lo, 32, v22
	s_waitcnt vmcnt(6)
	v_max3_f32 v19, v19, v10, v9
	v_cndmask_b32_e32 v22, v23, v22, vcc_lo
	s_waitcnt vmcnt(4)
	v_max3_f32 v19, v19, v8, v7
	s_waitcnt vmcnt(2)
	v_max3_f32 v21, v19, v6, v5
	v_lshlrev_b32_e32 v19, 2, v20
	s_waitcnt vmcnt(0)
	v_max3_f32 v21, v21, v4, v3
	ds_bpermute_b32 v20, v19, v21
	s_waitcnt lgkmcnt(0)
	v_max_f32_e32 v24, v20, v20
	v_lshlrev_b32_e32 v20, 2, v22
	v_max_f32_e32 v22, v21, v24
	v_xor_b32_e32 v24, 4, v23
	ds_bpermute_b32 v21, v20, v22
	v_cmp_gt_i32_e32 vcc_lo, 32, v24
	v_cndmask_b32_e32 v24, v23, v24, vcc_lo
	s_waitcnt lgkmcnt(0)
	v_max_f32_e32 v25, v21, v21
	v_lshlrev_b32_e32 v21, 2, v24
	v_max_f32_e32 v24, v22, v25
	v_xor_b32_e32 v25, 2, v23
	ds_bpermute_b32 v22, v21, v24
	v_cmp_gt_i32_e32 vcc_lo, 32, v25
	v_cndmask_b32_e32 v25, v23, v25, vcc_lo
	;; [unrolled: 8-line block ×3, first 2 shown]
	v_lshlrev_b32_e32 v23, 2, v23
	s_waitcnt lgkmcnt(0)
	v_max_f32_e32 v25, v25, v25
	v_max_f32_e32 v24, v24, v25
	ds_bpermute_b32 v25, v23, v24
	s_waitcnt lgkmcnt(0)
	v_max_f32_e32 v25, v25, v25
	v_max_f32_e32 v24, v24, v25
	v_sub_f32_e32 v25, v18, v24
	v_sub_f32_e32 v26, v17, v24
	;; [unrolled: 1-line block ×5, first 2 shown]
	v_mul_f32_e32 v42, 0x3fb8aa3b, v25
	v_mul_f32_e32 v43, 0x3fb8aa3b, v26
	;; [unrolled: 1-line block ×4, first 2 shown]
	v_cmp_ngt_f32_e32 vcc_lo, 0xc2ce8ed0, v25
	v_fma_f32 v58, 0x3fb8aa3b, v25, -v42
	v_rndne_f32_e32 v59, v42
	v_fma_f32 v60, 0x3fb8aa3b, v26, -v43
	v_rndne_f32_e32 v61, v43
	v_fma_f32 v62, 0x3fb8aa3b, v27, -v44
	v_fmac_f32_e32 v58, 0x32a5705f, v25
	v_sub_f32_e32 v42, v42, v59
	v_rndne_f32_e32 v63, v44
	v_fmac_f32_e32 v60, 0x32a5705f, v26
	v_sub_f32_e32 v43, v43, v61
	v_fmac_f32_e32 v62, 0x32a5705f, v27
	v_add_f32_e32 v42, v42, v58
	v_sub_f32_e32 v44, v44, v63
	v_cvt_i32_f32_e32 v59, v59
	v_add_f32_e32 v43, v43, v60
	v_fma_f32 v64, 0x3fb8aa3b, v28, -v45
	v_exp_f32_e32 v42, v42
	v_add_f32_e32 v44, v44, v62
	v_rndne_f32_e32 v65, v45
	v_exp_f32_e32 v43, v43
	v_cvt_i32_f32_e32 v61, v61
	v_mul_f32_e32 v46, 0x3fb8aa3b, v29
	v_exp_f32_e32 v44, v44
	v_fmac_f32_e32 v64, 0x32a5705f, v28
	v_sub_f32_e32 v45, v45, v65
	v_cvt_i32_f32_e32 v63, v63
	v_ldexp_f32 v42, v42, v59
	v_sub_f32_e32 v30, v13, v24
	v_fma_f32 v66, 0x3fb8aa3b, v29, -v46
	v_ldexp_f32 v43, v43, v61
	v_rndne_f32_e32 v67, v46
	v_cndmask_b32_e32 v42, 0, v42, vcc_lo
	v_cmp_ngt_f32_e32 vcc_lo, 0xc2ce8ed0, v26
	v_add_f32_e32 v45, v45, v64
	v_ldexp_f32 v44, v44, v63
	v_mul_f32_e32 v47, 0x3fb8aa3b, v30
	v_fmac_f32_e32 v66, 0x32a5705f, v29
	v_cndmask_b32_e32 v43, 0, v43, vcc_lo
	v_cmp_ngt_f32_e32 vcc_lo, 0xc2ce8ed0, v27
	v_sub_f32_e32 v46, v46, v67
	v_exp_f32_e32 v45, v45
	v_sub_f32_e32 v31, v12, v24
	v_fma_f32 v68, 0x3fb8aa3b, v30, -v47
	v_cndmask_b32_e32 v44, 0, v44, vcc_lo
	v_cmp_nlt_f32_e32 vcc_lo, 0x42b17218, v25
	v_rndne_f32_e32 v69, v47
	v_cvt_i32_f32_e32 v65, v65
	v_add_f32_e32 v46, v46, v66
	v_mul_f32_e32 v48, 0x3fb8aa3b, v31
	v_cndmask_b32_e32 v25, 0x7f800000, v42, vcc_lo
	v_cmp_nlt_f32_e32 vcc_lo, 0x42b17218, v26
	v_fmac_f32_e32 v68, 0x32a5705f, v30
	v_sub_f32_e32 v47, v47, v69
	v_exp_f32_e32 v46, v46
	v_ldexp_f32 v45, v45, v65
	v_cndmask_b32_e32 v26, 0x7f800000, v43, vcc_lo
	v_cmp_ngt_f32_e32 vcc_lo, 0xc2ce8ed0, v28
	v_sub_f32_e32 v32, v11, v24
	v_fma_f32 v70, 0x3fb8aa3b, v31, -v48
	v_rndne_f32_e32 v71, v48
	v_cvt_i32_f32_e32 v67, v67
	v_add_f32_e32 v47, v47, v68
	v_cndmask_b32_e32 v42, 0, v45, vcc_lo
	v_cmp_nlt_f32_e32 vcc_lo, 0x42b17218, v27
	v_mul_f32_e32 v49, 0x3fb8aa3b, v32
	v_fmac_f32_e32 v70, 0x32a5705f, v31
	v_sub_f32_e32 v48, v48, v71
	v_exp_f32_e32 v47, v47
	v_ldexp_f32 v46, v46, v67
	v_cndmask_b32_e32 v27, 0x7f800000, v44, vcc_lo
	v_cmp_ngt_f32_e32 vcc_lo, 0xc2ce8ed0, v29
	v_sub_f32_e32 v33, v10, v24
	v_fma_f32 v72, 0x3fb8aa3b, v32, -v49
	v_rndne_f32_e32 v73, v49
	v_cvt_i32_f32_e32 v69, v69
	v_add_f32_e32 v48, v48, v70
	v_cndmask_b32_e32 v44, 0, v46, vcc_lo
	v_cmp_nlt_f32_e32 vcc_lo, 0x42b17218, v28
	v_mul_f32_e32 v50, 0x3fb8aa3b, v33
	v_fmac_f32_e32 v72, 0x32a5705f, v32
	v_sub_f32_e32 v49, v49, v73
	v_exp_f32_e32 v48, v48
	v_ldexp_f32 v47, v47, v69
	v_add_f32_e32 v43, v25, v26
	v_cndmask_b32_e32 v28, 0x7f800000, v42, vcc_lo
	v_cmp_ngt_f32_e32 vcc_lo, 0xc2ce8ed0, v30
	v_sub_f32_e32 v35, v9, v24
	v_fma_f32 v74, 0x3fb8aa3b, v33, -v50
	v_rndne_f32_e32 v75, v50
	v_cvt_i32_f32_e32 v71, v71
	v_add_f32_e32 v49, v49, v72
	v_add_f32_e32 v42, v27, v43
	v_cndmask_b32_e32 v43, 0, v47, vcc_lo
	v_cmp_nlt_f32_e32 vcc_lo, 0x42b17218, v29
	v_mul_f32_e32 v51, 0x3fb8aa3b, v35
	v_fmac_f32_e32 v74, 0x32a5705f, v33
	v_sub_f32_e32 v50, v50, v75
	v_exp_f32_e32 v49, v49
	v_ldexp_f32 v48, v48, v71
	v_cndmask_b32_e32 v29, 0x7f800000, v44, vcc_lo
	v_cmp_ngt_f32_e32 vcc_lo, 0xc2ce8ed0, v31
	v_sub_f32_e32 v36, v8, v24
	v_fma_f32 v76, 0x3fb8aa3b, v35, -v51
	v_rndne_f32_e32 v77, v51
	v_cvt_i32_f32_e32 v73, v73
	v_add_f32_e32 v50, v50, v74
	v_cndmask_b32_e32 v44, 0, v48, vcc_lo
	v_cmp_nlt_f32_e32 vcc_lo, 0x42b17218, v30
	v_mul_f32_e32 v52, 0x3fb8aa3b, v36
	v_fmac_f32_e32 v76, 0x32a5705f, v35
	v_sub_f32_e32 v51, v51, v77
	v_exp_f32_e32 v50, v50
	v_ldexp_f32 v49, v49, v73
	v_cndmask_b32_e32 v30, 0x7f800000, v43, vcc_lo
	v_cmp_ngt_f32_e32 vcc_lo, 0xc2ce8ed0, v32
	v_sub_f32_e32 v38, v7, v24
	v_fma_f32 v78, 0x3fb8aa3b, v36, -v52
	v_rndne_f32_e32 v79, v52
	v_cvt_i32_f32_e32 v75, v75
	;; [unrolled: 14-line block ×5, first 2 shown]
	v_add_f32_e32 v54, v54, v82
	v_cndmask_b32_e32 v44, 0, v52, vcc_lo
	v_cmp_nlt_f32_e32 vcc_lo, 0x42b17218, v35
	v_mul_f32_e32 v56, 0x3fb8aa3b, v41
	v_fmac_f32_e32 v84, 0x32a5705f, v40
	v_sub_f32_e32 v55, v55, v85
	v_exp_f32_e32 v54, v54
	v_ldexp_f32 v53, v53, v81
	v_add_f32_e32 v42, v28, v42
	v_cndmask_b32_e32 v35, 0x7f800000, v43, vcc_lo
	v_cmp_ngt_f32_e32 vcc_lo, 0xc2ce8ed0, v38
	v_sub_f32_e32 v24, v3, v24
	v_fma_f32 v86, 0x3fb8aa3b, v41, -v56
	v_rndne_f32_e32 v87, v56
	v_cvt_i32_f32_e32 v83, v83
	v_add_f32_e32 v55, v55, v84
	v_add_f32_e32 v42, v29, v42
	v_cndmask_b32_e32 v43, 0, v53, vcc_lo
	v_cmp_nlt_f32_e32 vcc_lo, 0x42b17218, v36
	v_mul_f32_e32 v57, 0x3fb8aa3b, v24
	v_fmac_f32_e32 v86, 0x32a5705f, v41
	v_sub_f32_e32 v56, v56, v87
	v_exp_f32_e32 v55, v55
	v_ldexp_f32 v54, v54, v83
	v_add_f32_e32 v42, v30, v42
	v_cndmask_b32_e32 v36, 0x7f800000, v44, vcc_lo
	v_cmp_ngt_f32_e32 vcc_lo, 0xc2ce8ed0, v39
	v_fma_f32 v88, 0x3fb8aa3b, v24, -v57
	v_rndne_f32_e32 v89, v57
	v_cvt_i32_f32_e32 v85, v85
	v_add_f32_e32 v56, v56, v86
	v_add_f32_e32 v42, v31, v42
	v_cndmask_b32_e32 v44, 0, v54, vcc_lo
	v_cmp_nlt_f32_e32 vcc_lo, 0x42b17218, v38
	v_fmac_f32_e32 v88, 0x32a5705f, v24
	v_sub_f32_e32 v57, v57, v89
	v_exp_f32_e32 v56, v56
	v_ldexp_f32 v55, v55, v85
	v_add_f32_e32 v42, v32, v42
	v_cndmask_b32_e32 v38, 0x7f800000, v43, vcc_lo
	v_cmp_ngt_f32_e32 vcc_lo, 0xc2ce8ed0, v40
	v_cvt_i32_f32_e32 v87, v87
	v_add_f32_e32 v57, v57, v88
	v_add_f32_e32 v42, v33, v42
	v_cvt_i32_f32_e32 v89, v89
	v_cndmask_b32_e32 v43, 0, v55, vcc_lo
	v_cmp_nlt_f32_e32 vcc_lo, 0x42b17218, v39
	v_exp_f32_e32 v57, v57
	v_ldexp_f32 v56, v56, v87
	v_add_f32_e32 v42, v35, v42
	v_cndmask_b32_e32 v39, 0x7f800000, v44, vcc_lo
	v_cmp_ngt_f32_e32 vcc_lo, 0xc2ce8ed0, v41
	v_add_f32_e32 v42, v36, v42
	v_cndmask_b32_e32 v44, 0, v56, vcc_lo
	v_cmp_nlt_f32_e32 vcc_lo, 0x42b17218, v40
	v_ldexp_f32 v57, v57, v89
	v_add_f32_e32 v42, v38, v42
	v_cndmask_b32_e32 v40, 0x7f800000, v43, vcc_lo
	v_cmp_ngt_f32_e32 vcc_lo, 0xc2ce8ed0, v24
	v_add_f32_e32 v42, v39, v42
	v_cndmask_b32_e32 v43, 0, v57, vcc_lo
	v_cmp_nlt_f32_e32 vcc_lo, 0x42b17218, v41
	v_add_f32_e32 v42, v40, v42
	v_cndmask_b32_e32 v41, 0x7f800000, v44, vcc_lo
	v_cmp_nlt_f32_e32 vcc_lo, 0x42b17218, v24
	v_add_f32_e32 v24, v41, v42
	v_cndmask_b32_e32 v43, 0x7f800000, v43, vcc_lo
	v_add_f32_e32 v24, v43, v24
	ds_bpermute_b32 v19, v19, v24
	s_waitcnt lgkmcnt(0)
	v_add_f32_e32 v19, v24, v19
	ds_bpermute_b32 v20, v20, v19
	s_waitcnt lgkmcnt(0)
	v_add_f32_e32 v19, v19, v20
	ds_bpermute_b32 v20, v21, v19
	s_waitcnt lgkmcnt(0)
	v_add_f32_e32 v19, v19, v20
	ds_bpermute_b32 v20, v22, v19
	s_waitcnt lgkmcnt(0)
	v_add_f32_e32 v19, v19, v20
	ds_bpermute_b32 v20, v23, v19
	s_waitcnt lgkmcnt(0)
	v_add_f32_e32 v19, v19, v20
	v_div_scale_f32 v20, null, v19, v19, 1.0
	v_div_scale_f32 v23, vcc_lo, 1.0, v19, 1.0
	v_rcp_f32_e32 v21, v20
	v_fma_f32 v22, -v20, v21, 1.0
	v_fmac_f32_e32 v21, v22, v21
	v_mul_f32_e32 v22, v23, v21
	v_fma_f32 v24, -v20, v22, v23
	v_fmac_f32_e32 v22, v24, v21
	v_fma_f32 v20, -v20, v22, v23
	v_div_fmas_f32 v20, v20, v21, v22
	v_div_fixup_f32 v42, v20, v19, 1.0
	v_mul_f32_e32 v19, v25, v42
	v_mul_f32_e32 v20, v26, v42
	;; [unrolled: 1-line block ×16, first 2 shown]
	s_andn2_b32 vcc_lo, exec_lo, s0
	s_cbranch_vccz .LBB20_5
	s_branch .LBB20_6
.LBB20_4:
                                        ; implicit-def: $vgpr30
                                        ; implicit-def: $vgpr31
                                        ; implicit-def: $vgpr32
                                        ; implicit-def: $vgpr33
                                        ; implicit-def: $vgpr35
                                        ; implicit-def: $vgpr27
                                        ; implicit-def: $vgpr28
                                        ; implicit-def: $vgpr29
                                        ; implicit-def: $vgpr26
                                        ; implicit-def: $vgpr25
                                        ; implicit-def: $vgpr24
                                        ; implicit-def: $vgpr22
                                        ; implicit-def: $vgpr23
                                        ; implicit-def: $vgpr21
                                        ; implicit-def: $vgpr20
                                        ; implicit-def: $vgpr19
.LBB20_5:
	s_waitcnt vmcnt(15)
	v_mul_f32_e32 v19, 0xbfb8aa3b, v18
	s_waitcnt vmcnt(14)
	v_mul_f32_e32 v20, 0xbfb8aa3b, v17
	;; [unrolled: 2-line block ×3, first 2 shown]
	v_cmp_nlt_f32_e32 vcc_lo, 0x42ce8ed0, v18
	s_waitcnt vmcnt(12)
	v_mul_f32_e32 v26, 0xbfb8aa3b, v15
	v_rndne_f32_e32 v21, v19
	v_fma_f32 v22, 0xbfb8aa3b, v18, -v19
	v_rndne_f32_e32 v24, v20
	v_fma_f32 v25, 0xbfb8aa3b, v17, -v20
	v_fma_f32 v28, 0xbfb8aa3b, v16, -v23
	v_sub_f32_e32 v19, v19, v21
	v_fmac_f32_e32 v22, 0xb2a5705f, v18
	v_sub_f32_e32 v20, v20, v24
	v_fmac_f32_e32 v25, 0xb2a5705f, v17
	v_cvt_i32_f32_e32 v21, v21
	v_cvt_i32_f32_e32 v24, v24
	v_add_f32_e32 v19, v19, v22
	v_rndne_f32_e32 v22, v23
	v_add_f32_e32 v20, v20, v25
	v_rndne_f32_e32 v25, v26
	v_fma_f32 v29, 0xbfb8aa3b, v15, -v26
	v_exp_f32_e32 v19, v19
	v_sub_f32_e32 v23, v23, v22
	v_exp_f32_e32 v20, v20
	v_fmac_f32_e32 v28, 0xb2a5705f, v16
	v_sub_f32_e32 v26, v26, v25
	v_fmac_f32_e32 v29, 0xb2a5705f, v15
	s_waitcnt vmcnt(11)
	v_mul_f32_e32 v27, 0xbfb8aa3b, v14
	s_waitcnt vmcnt(10)
	v_mul_f32_e32 v32, 0xbfb8aa3b, v13
	v_cmp_ngt_f32_e64 s1, 0xc2b17218, v15
	v_ldexp_f32 v19, v19, v21
	v_add_f32_e32 v21, v23, v28
	v_ldexp_f32 v20, v20, v24
	v_add_f32_e32 v23, v26, v29
	v_rndne_f32_e32 v30, v27
	v_cndmask_b32_e32 v19, 0, v19, vcc_lo
	v_cmp_nlt_f32_e32 vcc_lo, 0x42ce8ed0, v17
	v_fma_f32 v31, 0xbfb8aa3b, v14, -v27
	v_sub_f32_e32 v24, v27, v30
	v_cndmask_b32_e32 v20, 0, v20, vcc_lo
	v_cmp_ngt_f32_e32 vcc_lo, 0xc2b17218, v18
	v_fmac_f32_e32 v31, 0xb2a5705f, v14
	v_cndmask_b32_e32 v18, 0x7f800000, v19, vcc_lo
	v_cmp_ngt_f32_e32 vcc_lo, 0xc2b17218, v17
	v_exp_f32_e32 v19, v21
	v_cvt_i32_f32_e32 v21, v25
	v_add_f32_e32 v18, 1.0, v18
	v_cndmask_b32_e32 v17, 0x7f800000, v20, vcc_lo
	v_cvt_i32_f32_e32 v20, v22
	v_exp_f32_e32 v22, v23
	v_cmp_nlt_f32_e32 vcc_lo, 0x42ce8ed0, v16
	v_div_scale_f32 v23, null, v18, v18, 1.0
	v_add_f32_e32 v17, 1.0, v17
	v_ldexp_f32 v19, v19, v20
	v_rcp_f32_e32 v25, v23
	v_div_scale_f32 v20, null, v17, v17, 1.0
	v_cndmask_b32_e32 v19, 0, v19, vcc_lo
	v_ldexp_f32 v21, v22, v21
	v_cmp_ngt_f32_e32 vcc_lo, 0xc2b17218, v16
	v_rcp_f32_e32 v22, v20
	v_cndmask_b32_e32 v16, 0x7f800000, v19, vcc_lo
	v_add_f32_e32 v19, v24, v31
	v_cmp_nlt_f32_e32 vcc_lo, 0x42ce8ed0, v15
	v_fma_f32 v24, -v23, v25, 1.0
	v_add_f32_e32 v16, 1.0, v16
	v_fma_f32 v27, -v20, v22, 1.0
	v_cndmask_b32_e32 v21, 0, v21, vcc_lo
	v_div_scale_f32 v26, vcc_lo, 1.0, v18, 1.0
	v_fmac_f32_e32 v25, v24, v25
	v_div_scale_f32 v24, s0, 1.0, v17, 1.0
	v_fmac_f32_e32 v22, v27, v22
	v_exp_f32_e32 v33, v19
	v_mul_f32_e32 v27, v26, v25
	v_div_scale_f32 v28, null, v16, v16, 1.0
	v_mul_f32_e32 v29, v24, v22
	v_cndmask_b32_e64 v15, 0x7f800000, v21, s1
	v_fma_f32 v31, -v23, v27, v26
	v_rcp_f32_e32 v21, v28
	v_fma_f32 v19, -v20, v29, v24
	v_add_f32_e32 v15, 1.0, v15
	v_fmac_f32_e32 v27, v31, v25
	v_div_scale_f32 v31, s1, 1.0, v16, 1.0
	v_fmac_f32_e32 v29, v19, v22
	v_fma_f32 v19, -v23, v27, v26
	v_cvt_i32_f32_e32 v23, v30
	v_rndne_f32_e32 v26, v32
	v_fma_f32 v30, 0xbfb8aa3b, v13, -v32
	v_fma_f32 v20, -v20, v29, v24
	v_div_fmas_f32 v19, v19, v25, v27
	v_cmp_nlt_f32_e32 vcc_lo, 0x42ce8ed0, v14
	v_fma_f32 v35, -v28, v21, 1.0
	v_fmac_f32_e32 v30, 0xb2a5705f, v13
	v_div_scale_f32 v25, null, v15, v15, 1.0
	v_div_fixup_f32 v19, v19, v18, 1.0
	v_ldexp_f32 v18, v33, v23
	v_sub_f32_e32 v23, v32, v26
	v_fmac_f32_e32 v21, v35, v21
	v_cvt_i32_f32_e32 v26, v26
	v_rcp_f32_e32 v27, v25
	v_cndmask_b32_e32 v18, 0, v18, vcc_lo
	s_mov_b32 vcc_lo, s0
	v_add_f32_e32 v23, v23, v30
	v_div_fmas_f32 v20, v20, v22, v29
	v_cmp_ngt_f32_e32 vcc_lo, 0xc2b17218, v14
	v_mul_f32_e32 v24, v31, v21
	v_div_fixup_f32 v20, v20, v17, 1.0
	v_cndmask_b32_e32 v14, 0x7f800000, v18, vcc_lo
	v_exp_f32_e32 v18, v23
	s_waitcnt vmcnt(9)
	v_mul_f32_e32 v23, 0xbfb8aa3b, v12
	v_cmp_nlt_f32_e32 vcc_lo, 0x42ce8ed0, v13
	v_fma_f32 v22, -v28, v24, v31
	v_add_f32_e32 v14, 1.0, v14
	v_rndne_f32_e32 v29, v23
	v_fma_f32 v30, 0xbfb8aa3b, v12, -v23
	v_fmac_f32_e32 v24, v22, v21
	v_fma_f32 v22, -v25, v27, 1.0
	v_ldexp_f32 v18, v18, v26
	v_sub_f32_e32 v23, v23, v29
	v_fmac_f32_e32 v30, 0xb2a5705f, v12
	v_div_scale_f32 v32, null, v14, v14, 1.0
	v_cndmask_b32_e32 v18, 0, v18, vcc_lo
	v_cmp_ngt_f32_e32 vcc_lo, 0xc2b17218, v13
	v_add_f32_e32 v23, v23, v30
	v_fmac_f32_e32 v27, v22, v27
	v_rcp_f32_e32 v22, v32
	v_div_scale_f32 v26, s0, 1.0, v15, 1.0
	v_cndmask_b32_e32 v13, 0x7f800000, v18, vcc_lo
	v_exp_f32_e32 v17, v23
	v_cvt_i32_f32_e32 v29, v29
	v_mul_f32_e32 v18, v26, v27
	v_fma_f32 v23, -v28, v24, v31
	v_add_f32_e32 v13, 1.0, v13
	v_cmp_nlt_f32_e32 vcc_lo, 0x42ce8ed0, v12
	v_fma_f32 v28, -v32, v22, 1.0
	v_fma_f32 v30, -v25, v18, v26
	v_div_scale_f32 v31, null, v13, v13, 1.0
	v_ldexp_f32 v17, v17, v29
	v_fmac_f32_e32 v22, v28, v22
	v_div_scale_f32 v28, s2, 1.0, v14, 1.0
	v_rcp_f32_e32 v29, v31
	v_cndmask_b32_e32 v17, 0, v17, vcc_lo
	s_mov_b32 vcc_lo, s1
	v_fmac_f32_e32 v18, v30, v27
	v_div_fmas_f32 v21, v23, v21, v24
	v_cmp_ngt_f32_e32 vcc_lo, 0xc2b17218, v12
	v_mul_f32_e32 v23, v28, v22
	v_div_scale_f32 v30, s1, 1.0, v13, 1.0
	v_fma_f32 v24, -v25, v18, v26
	v_cndmask_b32_e32 v12, 0x7f800000, v17, vcc_lo
	v_fma_f32 v17, -v31, v29, 1.0
	s_waitcnt vmcnt(8)
	v_mul_f32_e32 v25, 0xbfb8aa3b, v11
	v_div_fixup_f32 v21, v21, v16, 1.0
	v_fma_f32 v16, -v32, v23, v28
	v_add_f32_e32 v12, 1.0, v12
	v_fmac_f32_e32 v29, v17, v29
	v_rndne_f32_e32 v17, v25
	v_fma_f32 v26, 0xbfb8aa3b, v11, -v25
	v_fmac_f32_e32 v23, v16, v22
	s_mov_b32 vcc_lo, s0
	v_div_scale_f32 v16, null, v12, v12, 1.0
	v_sub_f32_e32 v25, v25, v17
	v_fmac_f32_e32 v26, 0xb2a5705f, v11
	v_div_fmas_f32 v18, v24, v27, v18
	v_fma_f32 v24, -v32, v23, v28
	v_mul_f32_e32 v27, v30, v29
	s_mov_b32 vcc_lo, s2
	v_add_f32_e32 v25, v25, v26
	v_rcp_f32_e32 v33, v16
	v_div_fmas_f32 v22, v24, v22, v23
	v_fma_f32 v24, -v31, v27, v30
	v_div_fixup_f32 v23, v18, v15, 1.0
	v_exp_f32_e32 v25, v25
	s_waitcnt vmcnt(7)
	v_mul_f32_e32 v15, 0xbfb8aa3b, v10
	v_div_fixup_f32 v22, v22, v14, 1.0
	v_cvt_i32_f32_e32 v14, v17
	v_fmac_f32_e32 v27, v24, v29
	v_cmp_nlt_f32_e32 vcc_lo, 0x42ce8ed0, v11
	v_fma_f32 v26, -v16, v33, 1.0
	v_fma_f32 v24, 0xbfb8aa3b, v10, -v15
	v_div_scale_f32 v17, s0, 1.0, v12, 1.0
	v_ldexp_f32 v14, v25, v14
	v_fma_f32 v18, -v31, v27, v30
	v_rndne_f32_e32 v25, v15
	v_fmac_f32_e32 v33, v26, v33
	v_fmac_f32_e32 v24, 0xb2a5705f, v10
	v_cndmask_b32_e32 v14, 0, v14, vcc_lo
	s_mov_b32 vcc_lo, s1
	v_sub_f32_e32 v15, v15, v25
	v_div_fmas_f32 v18, v18, v29, v27
	v_cmp_ngt_f32_e32 vcc_lo, 0xc2b17218, v11
	v_mul_f32_e32 v26, v17, v33
	v_cvt_i32_f32_e32 v25, v25
	v_cndmask_b32_e32 v11, 0x7f800000, v14, vcc_lo
	v_add_f32_e32 v14, v15, v24
	s_waitcnt vmcnt(6)
	v_mul_f32_e32 v15, 0xbfb8aa3b, v9
	v_fma_f32 v27, -v16, v26, v17
	v_div_fixup_f32 v24, v18, v13, 1.0
	v_cmp_nlt_f32_e32 vcc_lo, 0x42ce8ed0, v10
	v_exp_f32_e32 v13, v14
	v_rndne_f32_e32 v14, v15
	v_fma_f32 v18, 0xbfb8aa3b, v9, -v15
	v_fmac_f32_e32 v26, v27, v33
	s_waitcnt vmcnt(5)
	v_mul_f32_e32 v27, 0xbfb8aa3b, v8
	v_add_f32_e32 v11, 1.0, v11
	v_sub_f32_e32 v15, v15, v14
	v_fmac_f32_e32 v18, 0xb2a5705f, v9
	v_fma_f32 v16, -v16, v26, v17
	v_rndne_f32_e32 v29, v27
	v_fma_f32 v30, 0xbfb8aa3b, v8, -v27
	v_ldexp_f32 v13, v13, v25
	v_add_f32_e32 v15, v15, v18
	v_div_scale_f32 v28, null, v11, v11, 1.0
	v_sub_f32_e32 v18, v27, v29
	v_fmac_f32_e32 v30, 0xb2a5705f, v8
	v_cndmask_b32_e32 v13, 0, v13, vcc_lo
	v_exp_f32_e32 v15, v15
	v_cmp_ngt_f32_e32 vcc_lo, 0xc2b17218, v10
	v_rcp_f32_e32 v31, v28
	v_add_f32_e32 v17, v18, v30
	v_cndmask_b32_e32 v10, 0x7f800000, v13, vcc_lo
	v_cvt_i32_f32_e32 v13, v14
	s_mov_b32 vcc_lo, s0
	v_exp_f32_e32 v14, v17
	v_div_fmas_f32 v16, v16, v33, v26
	v_cmp_nlt_f32_e32 vcc_lo, 0x42ce8ed0, v9
	v_ldexp_f32 v13, v15, v13
	v_cvt_i32_f32_e32 v15, v29
	v_cmp_ngt_f32_e64 s0, 0xc2b17218, v8
	v_add_f32_e32 v10, 1.0, v10
	v_fma_f32 v18, -v28, v31, 1.0
	v_cndmask_b32_e32 v13, 0, v13, vcc_lo
	v_cmp_ngt_f32_e32 vcc_lo, 0xc2b17218, v9
	v_ldexp_f32 v14, v14, v15
	v_div_scale_f32 v15, null, v10, v10, 1.0
	v_fmac_f32_e32 v31, v18, v31
	v_cndmask_b32_e32 v9, 0x7f800000, v13, vcc_lo
	v_cmp_nlt_f32_e32 vcc_lo, 0x42ce8ed0, v8
	v_rcp_f32_e32 v17, v15
	s_waitcnt vmcnt(4)
	v_mul_f32_e32 v26, 0xbfb8aa3b, v7
	v_div_fixup_f32 v25, v16, v12, 1.0
	v_add_f32_e32 v9, 1.0, v9
	v_cndmask_b32_e32 v13, 0, v14, vcc_lo
	v_div_scale_f32 v14, vcc_lo, 1.0, v11, 1.0
	v_rndne_f32_e32 v32, v26
	v_fma_f32 v33, 0xbfb8aa3b, v7, -v26
	v_cndmask_b32_e64 v8, 0x7f800000, v13, s0
	v_mul_f32_e32 v13, v14, v31
	v_fma_f32 v16, -v15, v17, 1.0
	v_div_scale_f32 v18, null, v9, v9, 1.0
	v_add_f32_e32 v8, 1.0, v8
	v_fma_f32 v12, -v28, v13, v14
	v_sub_f32_e32 v26, v26, v32
	v_fmac_f32_e32 v33, 0xb2a5705f, v7
	v_fmac_f32_e32 v17, v16, v17
	v_div_scale_f32 v29, null, v8, v8, 1.0
	v_div_scale_f32 v16, s0, 1.0, v10, 1.0
	v_rcp_f32_e32 v27, v18
	v_rcp_f32_e32 v30, v29
	v_fmac_f32_e32 v13, v12, v31
	v_add_f32_e32 v26, v26, v33
	v_mul_f32_e32 v12, v16, v17
	v_div_scale_f32 v38, s2, 1.0, v8, 1.0
	v_fma_f32 v14, -v28, v13, v14
	v_fma_f32 v28, -v15, v12, v16
	v_fma_f32 v35, -v18, v27, 1.0
	v_fma_f32 v36, -v29, v30, 1.0
	v_div_fmas_f32 v13, v14, v31, v13
	v_cvt_i32_f32_e32 v14, v32
	v_fmac_f32_e32 v12, v28, v17
	v_fmac_f32_e32 v27, v35, v27
	;; [unrolled: 1-line block ×3, first 2 shown]
	v_exp_f32_e32 v36, v26
	v_div_scale_f32 v35, s1, 1.0, v9, 1.0
	v_div_fixup_f32 v26, v13, v11, 1.0
	v_cmp_nlt_f32_e32 vcc_lo, 0x42ce8ed0, v7
	v_fma_f32 v13, -v15, v12, v16
	v_mul_f32_e32 v33, v35, v27
	v_mul_f32_e32 v31, v38, v30
	v_ldexp_f32 v11, v36, v14
	v_fma_f32 v28, -v18, v33, v35
	v_fma_f32 v14, -v29, v31, v38
	v_cndmask_b32_e32 v11, 0, v11, vcc_lo
	s_mov_b32 vcc_lo, s0
	v_fmac_f32_e32 v33, v28, v27
	v_div_fmas_f32 v12, v13, v17, v12
	v_cmp_ngt_f32_e32 vcc_lo, 0xc2b17218, v7
	v_fmac_f32_e32 v31, v14, v30
	v_fma_f32 v13, -v18, v33, v35
	v_cndmask_b32_e32 v7, 0x7f800000, v11, vcc_lo
	s_waitcnt vmcnt(3)
	v_mul_f32_e32 v11, 0xbfb8aa3b, v6
	v_fma_f32 v16, -v29, v31, v38
	s_mov_b32 vcc_lo, s1
	v_div_fixup_f32 v29, v12, v10, 1.0
	v_div_fmas_f32 v13, v13, v27, v33
	v_rndne_f32_e32 v14, v11
	v_fma_f32 v15, 0xbfb8aa3b, v6, -v11
	s_mov_b32 vcc_lo, s2
	v_add_f32_e32 v7, 1.0, v7
	v_div_fmas_f32 v16, v16, v30, v31
	v_sub_f32_e32 v11, v11, v14
	v_fmac_f32_e32 v15, 0xb2a5705f, v6
	v_div_fixup_f32 v28, v13, v9, 1.0
	v_div_scale_f32 v17, null, v7, v7, 1.0
	v_div_fixup_f32 v27, v16, v8, 1.0
	v_add_f32_e32 v11, v11, v15
	s_waitcnt vmcnt(2)
	v_mul_f32_e32 v15, 0xbfb8aa3b, v5
	v_cvt_i32_f32_e32 v13, v14
	v_rcp_f32_e32 v18, v17
	v_cmp_nlt_f32_e32 vcc_lo, 0x42ce8ed0, v6
	v_exp_f32_e32 v8, v11
	v_rndne_f32_e32 v9, v15
	v_fma_f32 v10, 0xbfb8aa3b, v5, -v15
	s_waitcnt vmcnt(1)
	v_mul_f32_e32 v11, 0xbfb8aa3b, v4
	s_waitcnt vmcnt(0)
	v_mul_f32_e32 v30, 0xbfb8aa3b, v3
	v_sub_f32_e32 v14, v15, v9
	v_fmac_f32_e32 v10, 0xb2a5705f, v5
	v_rndne_f32_e32 v15, v11
	v_fma_f32 v16, 0xbfb8aa3b, v4, -v11
	v_ldexp_f32 v8, v8, v13
	v_fma_f32 v12, -v17, v18, 1.0
	v_add_f32_e32 v10, v14, v10
	v_sub_f32_e32 v11, v11, v15
	v_fmac_f32_e32 v16, 0xb2a5705f, v4
	v_cndmask_b32_e32 v8, 0, v8, vcc_lo
	v_cmp_ngt_f32_e32 vcc_lo, 0xc2b17218, v6
	v_exp_f32_e32 v10, v10
	v_rndne_f32_e32 v13, v30
	v_add_f32_e32 v11, v11, v16
	v_fma_f32 v14, 0xbfb8aa3b, v3, -v30
	v_cndmask_b32_e32 v6, 0x7f800000, v8, vcc_lo
	v_cvt_i32_f32_e32 v9, v9
	v_sub_f32_e32 v16, v30, v13
	v_exp_f32_e32 v8, v11
	v_fmac_f32_e32 v14, 0xb2a5705f, v3
	v_fmac_f32_e32 v18, v12, v18
	v_cvt_i32_f32_e32 v12, v15
	v_ldexp_f32 v9, v10, v9
	v_cmp_nlt_f32_e32 vcc_lo, 0x42ce8ed0, v5
	v_add_f32_e32 v11, v16, v14
	v_add_f32_e32 v6, 1.0, v6
	v_ldexp_f32 v8, v8, v12
	v_cndmask_b32_e32 v9, 0, v9, vcc_lo
	v_cmp_nlt_f32_e32 vcc_lo, 0x42ce8ed0, v4
	v_exp_f32_e32 v10, v11
	v_cvt_i32_f32_e32 v12, v13
	v_div_scale_f32 v11, null, v6, v6, 1.0
	v_cndmask_b32_e32 v8, 0, v8, vcc_lo
	v_cmp_ngt_f32_e32 vcc_lo, 0xc2b17218, v5
	v_cndmask_b32_e32 v5, 0x7f800000, v9, vcc_lo
	v_cmp_ngt_f32_e32 vcc_lo, 0xc2b17218, v4
	v_ldexp_f32 v9, v10, v12
	v_add_f32_e32 v5, 1.0, v5
	v_cndmask_b32_e32 v4, 0x7f800000, v8, vcc_lo
	v_cmp_nlt_f32_e32 vcc_lo, 0x42ce8ed0, v3
	v_rcp_f32_e32 v8, v11
	v_div_scale_f32 v10, null, v5, v5, 1.0
	v_cndmask_b32_e32 v9, 0, v9, vcc_lo
	v_cmp_ngt_f32_e32 vcc_lo, 0xc2b17218, v3
	v_add_f32_e32 v4, 1.0, v4
	v_rcp_f32_e32 v13, v10
	v_cndmask_b32_e32 v3, 0x7f800000, v9, vcc_lo
	v_div_scale_f32 v9, null, v4, v4, 1.0
	v_div_scale_f32 v12, vcc_lo, 1.0, v7, 1.0
	v_add_f32_e32 v3, 1.0, v3
	v_rcp_f32_e32 v15, v9
	v_fma_f32 v14, -v11, v8, 1.0
	v_mul_f32_e32 v16, v12, v18
	v_fma_f32 v31, -v10, v13, 1.0
	v_div_scale_f32 v30, null, v3, v3, 1.0
	v_fmac_f32_e32 v8, v14, v8
	v_div_scale_f32 v14, s0, 1.0, v6, 1.0
	v_rcp_f32_e32 v32, v30
	v_fma_f32 v35, -v9, v15, 1.0
	v_fma_f32 v33, -v17, v16, v12
	v_mul_f32_e32 v36, v14, v8
	v_fmac_f32_e32 v13, v31, v13
	v_div_scale_f32 v31, s1, 1.0, v5, 1.0
	v_fmac_f32_e32 v15, v35, v15
	v_div_scale_f32 v35, s2, 1.0, v4, 1.0
	v_fma_f32 v38, -v30, v32, 1.0
	v_fmac_f32_e32 v16, v33, v18
	v_fma_f32 v33, -v11, v36, v14
	v_mul_f32_e32 v39, v31, v13
	v_mul_f32_e32 v40, v35, v15
	v_fmac_f32_e32 v32, v38, v32
	v_div_scale_f32 v38, s3, 1.0, v3, 1.0
	v_fmac_f32_e32 v36, v33, v8
	v_fma_f32 v12, -v17, v16, v12
	v_fma_f32 v17, -v10, v39, v31
	v_mul_f32_e32 v41, v38, v32
	v_fma_f32 v33, -v9, v40, v35
	v_fma_f32 v11, -v11, v36, v14
	v_div_fmas_f32 v12, v12, v18, v16
	v_fmac_f32_e32 v39, v17, v13
	v_fma_f32 v14, -v30, v41, v38
	v_fmac_f32_e32 v40, v33, v15
	s_mov_b32 vcc_lo, s0
	v_fma_f32 v10, -v10, v39, v31
	v_fmac_f32_e32 v41, v14, v32
	v_fma_f32 v9, -v9, v40, v35
	v_div_fmas_f32 v8, v11, v8, v36
	s_mov_b32 vcc_lo, s1
	v_div_fixup_f32 v35, v12, v7, 1.0
	v_fma_f32 v11, -v30, v41, v38
	v_div_fmas_f32 v10, v10, v13, v39
	s_mov_b32 vcc_lo, s2
	v_div_fixup_f32 v33, v8, v6, 1.0
	v_div_fmas_f32 v9, v9, v15, v40
	s_mov_b32 vcc_lo, s3
	v_div_fmas_f32 v11, v11, v32, v41
	v_div_fixup_f32 v32, v10, v5, 1.0
	v_div_fixup_f32 v31, v9, v4, 1.0
	;; [unrolled: 1-line block ×3, first 2 shown]
.LBB20_6:
	s_waitcnt vmcnt(15)
	v_mov_b32_e32 v18, v19
	s_waitcnt vmcnt(14)
	v_mov_b32_e32 v17, v20
	;; [unrolled: 2-line block ×16, first 2 shown]
.LBB20_7:
	s_lshr_b32 s0, s4, 8
	s_cmp_gt_i32 s45, 0
	s_mov_b32 s1, 0
	s_cbranch_scc1 .LBB20_9
; %bb.8:
	s_bitcmp1_b32 s0, 0
	s_cselect_b32 s2, -1, 0
	s_branch .LBB20_10
.LBB20_9:
	s_mov_b32 s1, -1
                                        ; implicit-def: $sgpr2
.LBB20_10:
	v_add_nc_u32_e32 v52, 32, v0
	v_add_nc_u32_e32 v51, 64, v0
	v_add_nc_u32_e32 v50, 0x60, v0
	v_or_b32_e32 v49, 0x80, v0
	v_add_nc_u32_e32 v48, 0xa0, v0
	v_add_nc_u32_e32 v47, 0xc0, v0
	v_add_nc_u32_e32 v46, 0xe0, v0
	v_or_b32_e32 v45, 0x100, v0
	;; [unrolled: 4-line block ×3, first 2 shown]
	v_add_nc_u32_e32 v40, 0x1a0, v0
	v_add_nc_u32_e32 v39, 0x1c0, v0
	v_add_nc_u32_e32 v38, 0x1e0, v0
	v_mbcnt_lo_u32_b32 v53, -1, 0
	s_andn2_b32 vcc_lo, exec_lo, s1
	s_mov_b32 s1, 0
	s_cbranch_vccnz .LBB20_37
; %bb.11:
	v_add_co_u32 v35, vcc_lo, s6, v1
	v_add_co_ci_u32_e64 v36, null, s7, v2, vcc_lo
	s_waitcnt vmcnt(15)
	v_cmp_o_f32_e32 vcc_lo, v18, v18
	v_xor_b32_e32 v1, 16, v53
	v_xor_b32_e32 v2, 8, v53
	s_bitcmp1_b32 s0, 0
	v_cndmask_b32_e32 v54, 0xff7fffff, v18, vcc_lo
	s_waitcnt vmcnt(14)
	v_cmp_o_f32_e32 vcc_lo, v17, v17
	s_cselect_b32 s2, -1, 0
	v_cndmask_b32_e32 v55, 0xff7fffff, v17, vcc_lo
	s_waitcnt vmcnt(13)
	v_cmp_o_f32_e32 vcc_lo, v16, v16
	v_mov_b32_e32 v17, 0
	v_cndmask_b32_e32 v56, 0xff7fffff, v16, vcc_lo
	s_waitcnt vmcnt(12)
	v_cmp_o_f32_e32 vcc_lo, v15, v15
	v_mov_b32_e32 v16, v17
	;; [unrolled: 4-line block ×12, first 2 shown]
	v_cndmask_b32_e32 v67, 0xff7fffff, v5, vcc_lo
	v_cmp_gt_i32_e32 vcc_lo, 32, v1
	v_mov_b32_e32 v5, v17
	v_cndmask_b32_e32 v1, v53, v1, vcc_lo
	s_waitcnt vmcnt(1)
	v_cmp_o_f32_e32 vcc_lo, v4, v4
	v_lshlrev_b32_e32 v70, 2, v1
	v_cndmask_b32_e32 v68, 0xff7fffff, v4, vcc_lo
	s_waitcnt vmcnt(0)
	v_cmp_o_f32_e32 vcc_lo, v3, v3
	v_xor_b32_e32 v1, 4, v53
	v_xor_b32_e32 v4, 1, v53
	v_cndmask_b32_e32 v69, 0xff7fffff, v3, vcc_lo
	v_cmp_gt_i32_e32 vcc_lo, 32, v2
	v_xor_b32_e32 v3, 2, v53
	v_cndmask_b32_e32 v2, v53, v2, vcc_lo
	v_cmp_gt_i32_e32 vcc_lo, 32, v1
	v_lshlrev_b32_e32 v71, 2, v2
	v_cndmask_b32_e32 v1, v53, v1, vcc_lo
	v_cmp_gt_i32_e32 vcc_lo, 32, v3
	v_mov_b32_e32 v2, v17
	v_lshlrev_b32_e32 v72, 2, v1
	v_cndmask_b32_e32 v3, v53, v3, vcc_lo
	v_cmp_gt_i32_e32 vcc_lo, 32, v4
	v_mov_b32_e32 v1, 0
	v_lshlrev_b32_e32 v73, 2, v3
	v_cndmask_b32_e32 v4, v53, v4, vcc_lo
	v_mov_b32_e32 v3, v17
	v_lshlrev_b32_e32 v74, 2, v4
	v_mov_b32_e32 v4, v17
	s_branch .LBB20_13
.LBB20_12:                              ;   in Loop: Header=BB20_13 Depth=1
	s_or_b32 exec_lo, exec_lo, s0
	s_and_b32 s0, s1, 31
	s_waitcnt lgkmcnt(0)
	v_mov_b32_e32 v33, v16
	v_mov_b32_e32 v18, v1
	v_cmp_eq_u32_e32 vcc_lo, s0, v0
	s_lshr_b32 m0, s1, 5
	v_mov_b32_e32 v32, v15
	v_mov_b32_e32 v31, v14
	;; [unrolled: 1-line block ×14, first 2 shown]
	v_movreld_b32_e32 v18, v75
	v_cndmask_b32_e32 v16, v16, v33, vcc_lo
	v_cndmask_b32_e32 v15, v15, v32, vcc_lo
	;; [unrolled: 1-line block ×16, first 2 shown]
	v_add_co_u32 v35, vcc_lo, v35, 4
	v_add_co_ci_u32_e64 v36, null, 0, v36, vcc_lo
	s_add_i32 s1, s1, 1
	s_cmp_eq_u32 s45, s1
	s_cbranch_scc1 .LBB20_38
.LBB20_13:                              ; =>This Inner Loop Header: Depth=1
	v_cmp_gt_f32_e32 vcc_lo, v55, v54
	s_mov_b32 s4, exec_lo
	v_cndmask_b32_e32 v18, v54, v55, vcc_lo
	v_cndmask_b32_e32 v19, v0, v52, vcc_lo
	v_cmp_gt_f32_e64 s0, v56, v18
	v_cndmask_b32_e64 v18, v18, v56, s0
	v_cndmask_b32_e64 v19, v19, v51, s0
	v_cmp_gt_f32_e32 vcc_lo, v57, v18
	v_cndmask_b32_e32 v18, v18, v57, vcc_lo
	v_cndmask_b32_e32 v19, v19, v50, vcc_lo
	v_cmp_gt_f32_e64 s0, v58, v18
	v_cndmask_b32_e64 v18, v18, v58, s0
	v_cndmask_b32_e64 v19, v19, v49, s0
	v_cmp_gt_f32_e32 vcc_lo, v59, v18
	;; [unrolled: 6-line block ×6, first 2 shown]
	v_cndmask_b32_e32 v18, v18, v67, vcc_lo
	v_cndmask_b32_e32 v19, v19, v40, vcc_lo
	v_cmp_gt_f32_e64 s0, v68, v18
	v_cndmask_b32_e64 v18, v18, v68, s0
	v_cmp_gt_f32_e32 vcc_lo, v69, v18
	v_cndmask_b32_e32 v75, v18, v69, vcc_lo
	v_cndmask_b32_e64 v18, v19, v39, s0
	ds_bpermute_b32 v19, v70, v75
	v_cndmask_b32_e32 v18, v18, v38, vcc_lo
	ds_bpermute_b32 v20, v70, v18
	s_waitcnt lgkmcnt(1)
	v_cmp_lt_f32_e64 s3, v75, v19
	v_cmpx_nlt_f32_e32 v75, v19
	s_cbranch_execz .LBB20_15
; %bb.14:                               ;   in Loop: Header=BB20_13 Depth=1
	v_cmp_eq_f32_e32 vcc_lo, v75, v19
	s_waitcnt lgkmcnt(0)
	v_cmp_lt_i32_e64 s0, v20, v18
	s_andn2_b32 s3, s3, exec_lo
	s_and_b32 s0, vcc_lo, s0
	s_and_b32 s0, s0, exec_lo
	s_or_b32 s3, s3, s0
.LBB20_15:                              ;   in Loop: Header=BB20_13 Depth=1
	s_or_b32 exec_lo, exec_lo, s4
	s_and_saveexec_b32 s0, s3
	s_cbranch_execz .LBB20_17
; %bb.16:                               ;   in Loop: Header=BB20_13 Depth=1
	v_mov_b32_e32 v75, v19
	s_waitcnt lgkmcnt(0)
	v_mov_b32_e32 v18, v20
.LBB20_17:                              ;   in Loop: Header=BB20_13 Depth=1
	s_or_b32 exec_lo, exec_lo, s0
	s_waitcnt lgkmcnt(0)
	ds_bpermute_b32 v20, v71, v75
	ds_bpermute_b32 v19, v71, v18
	s_mov_b32 s4, exec_lo
	s_waitcnt lgkmcnt(1)
	v_cmp_lt_f32_e64 s3, v75, v20
	v_cmpx_nlt_f32_e32 v75, v20
	s_cbranch_execz .LBB20_19
; %bb.18:                               ;   in Loop: Header=BB20_13 Depth=1
	v_cmp_eq_f32_e32 vcc_lo, v75, v20
	s_waitcnt lgkmcnt(0)
	v_cmp_lt_i32_e64 s0, v19, v18
	s_andn2_b32 s3, s3, exec_lo
	s_and_b32 s0, vcc_lo, s0
	s_and_b32 s0, s0, exec_lo
	s_or_b32 s3, s3, s0
.LBB20_19:                              ;   in Loop: Header=BB20_13 Depth=1
	s_or_b32 exec_lo, exec_lo, s4
	s_and_saveexec_b32 s0, s3
	s_cbranch_execz .LBB20_21
; %bb.20:                               ;   in Loop: Header=BB20_13 Depth=1
	v_mov_b32_e32 v75, v20
	s_waitcnt lgkmcnt(0)
	v_mov_b32_e32 v18, v19
.LBB20_21:                              ;   in Loop: Header=BB20_13 Depth=1
	s_or_b32 exec_lo, exec_lo, s0
	ds_bpermute_b32 v20, v72, v75
	s_waitcnt lgkmcnt(1)
	ds_bpermute_b32 v19, v72, v18
	s_mov_b32 s4, exec_lo
	s_waitcnt lgkmcnt(1)
	v_cmp_lt_f32_e64 s3, v75, v20
	v_cmpx_nlt_f32_e32 v75, v20
	s_cbranch_execz .LBB20_23
; %bb.22:                               ;   in Loop: Header=BB20_13 Depth=1
	v_cmp_eq_f32_e32 vcc_lo, v75, v20
	s_waitcnt lgkmcnt(0)
	v_cmp_lt_i32_e64 s0, v19, v18
	s_andn2_b32 s3, s3, exec_lo
	s_and_b32 s0, vcc_lo, s0
	s_and_b32 s0, s0, exec_lo
	s_or_b32 s3, s3, s0
.LBB20_23:                              ;   in Loop: Header=BB20_13 Depth=1
	s_or_b32 exec_lo, exec_lo, s4
	s_and_saveexec_b32 s0, s3
	s_cbranch_execz .LBB20_25
; %bb.24:                               ;   in Loop: Header=BB20_13 Depth=1
	v_mov_b32_e32 v75, v20
	s_waitcnt lgkmcnt(0)
	v_mov_b32_e32 v18, v19
.LBB20_25:                              ;   in Loop: Header=BB20_13 Depth=1
	s_or_b32 exec_lo, exec_lo, s0
	ds_bpermute_b32 v20, v73, v75
	s_waitcnt lgkmcnt(1)
	ds_bpermute_b32 v19, v73, v18
	s_mov_b32 s4, exec_lo
	s_waitcnt lgkmcnt(1)
	v_cmp_lt_f32_e64 s3, v75, v20
	v_cmpx_nlt_f32_e32 v75, v20
	s_cbranch_execz .LBB20_27
; %bb.26:                               ;   in Loop: Header=BB20_13 Depth=1
	v_cmp_eq_f32_e32 vcc_lo, v75, v20
	s_waitcnt lgkmcnt(0)
	v_cmp_lt_i32_e64 s0, v19, v18
	s_andn2_b32 s3, s3, exec_lo
	s_and_b32 s0, vcc_lo, s0
	s_and_b32 s0, s0, exec_lo
	s_or_b32 s3, s3, s0
.LBB20_27:                              ;   in Loop: Header=BB20_13 Depth=1
	s_or_b32 exec_lo, exec_lo, s4
	s_and_saveexec_b32 s0, s3
	s_cbranch_execz .LBB20_29
; %bb.28:                               ;   in Loop: Header=BB20_13 Depth=1
	v_mov_b32_e32 v75, v20
	s_waitcnt lgkmcnt(0)
	v_mov_b32_e32 v18, v19
.LBB20_29:                              ;   in Loop: Header=BB20_13 Depth=1
	s_or_b32 exec_lo, exec_lo, s0
	s_waitcnt lgkmcnt(0)
	ds_bpermute_b32 v19, v74, v75
	ds_bpermute_b32 v20, v74, v18
	s_mov_b32 s4, exec_lo
	s_waitcnt lgkmcnt(1)
	v_cmp_lt_f32_e64 s3, v75, v19
	v_cmpx_nlt_f32_e32 v75, v19
	s_cbranch_execz .LBB20_31
; %bb.30:                               ;   in Loop: Header=BB20_13 Depth=1
	v_cmp_eq_f32_e32 vcc_lo, v75, v19
	s_waitcnt lgkmcnt(0)
	v_cmp_lt_i32_e64 s0, v20, v18
	s_andn2_b32 s3, s3, exec_lo
	s_and_b32 s0, vcc_lo, s0
	s_and_b32 s0, s0, exec_lo
	s_or_b32 s3, s3, s0
.LBB20_31:                              ;   in Loop: Header=BB20_13 Depth=1
	s_or_b32 exec_lo, exec_lo, s4
	s_and_saveexec_b32 s0, s3
	s_cbranch_execz .LBB20_33
; %bb.32:                               ;   in Loop: Header=BB20_13 Depth=1
	v_mov_b32_e32 v75, v19
	s_waitcnt lgkmcnt(0)
	v_mov_b32_e32 v18, v20
.LBB20_33:                              ;   in Loop: Header=BB20_13 Depth=1
	s_or_b32 exec_lo, exec_lo, s0
	v_and_b32_e32 v19, 31, v18
	v_cmp_eq_u32_e32 vcc_lo, v19, v0
	s_and_saveexec_b32 s3, vcc_lo
	s_cbranch_execz .LBB20_35
; %bb.34:                               ;   in Loop: Header=BB20_13 Depth=1
	v_ashrrev_i32_e32 v19, 31, v18
	v_lshrrev_b32_e32 v19, 27, v19
	v_add_nc_u32_e32 v19, v18, v19
	v_ashrrev_i32_e32 v19, 5, v19
	v_cmp_ne_u32_e64 s0, 15, v19
	v_cndmask_b32_e64 v69, 0xff800000, v69, s0
	v_cmp_ne_u32_e64 s0, 14, v19
	v_cndmask_b32_e64 v68, 0xff800000, v68, s0
	;; [unrolled: 2-line block ×16, first 2 shown]
.LBB20_35:                              ;   in Loop: Header=BB20_13 Depth=1
	s_or_b32 exec_lo, exec_lo, s3
	s_and_saveexec_b32 s0, vcc_lo
	s_cbranch_execz .LBB20_12
; %bb.36:                               ;   in Loop: Header=BB20_13 Depth=1
	v_add_f32_e32 v19, v17, v75
	global_store_dword v[35:36], v18, off
	v_cndmask_b32_e64 v17, v17, v19, s2
	s_branch .LBB20_12
.LBB20_37:
	s_waitcnt vmcnt(14)
	v_mov_b32_e32 v17, 0
	v_mov_b32_e32 v18, v17
	;; [unrolled: 1-line block ×16, first 2 shown]
	s_waitcnt vmcnt(0)
	v_mov_b32_e32 v1, v17
	v_mov_b32_e32 v2, v18
	;; [unrolled: 1-line block ×16, first 2 shown]
.LBB20_38:
	s_and_b32 vcc_lo, exec_lo, s2
	s_cbranch_vccz .LBB20_40
; %bb.39:
	v_xor_b32_e32 v18, 16, v53
	v_xor_b32_e32 v19, 8, v53
	v_cmp_gt_i32_e32 vcc_lo, 32, v18
	v_cndmask_b32_e32 v18, v53, v18, vcc_lo
	v_cmp_gt_i32_e32 vcc_lo, 32, v19
	v_lshlrev_b32_e32 v18, 2, v18
	v_cndmask_b32_e32 v19, v53, v19, vcc_lo
	ds_bpermute_b32 v18, v18, v17
	v_lshlrev_b32_e32 v19, 2, v19
	s_waitcnt lgkmcnt(0)
	v_add_f32_e32 v17, v17, v18
	ds_bpermute_b32 v18, v19, v17
	v_xor_b32_e32 v19, 4, v53
	v_cmp_gt_i32_e32 vcc_lo, 32, v19
	v_cndmask_b32_e32 v19, v53, v19, vcc_lo
	v_lshlrev_b32_e32 v19, 2, v19
	s_waitcnt lgkmcnt(0)
	v_add_f32_e32 v17, v17, v18
	ds_bpermute_b32 v18, v19, v17
	v_xor_b32_e32 v19, 2, v53
	v_cmp_gt_i32_e32 vcc_lo, 32, v19
	v_cndmask_b32_e32 v19, v53, v19, vcc_lo
	;; [unrolled: 7-line block ×3, first 2 shown]
	v_lshlrev_b32_e32 v19, 2, v19
	s_waitcnt lgkmcnt(0)
	v_add_f32_e32 v17, v17, v18
	ds_bpermute_b32 v18, v19, v17
	v_max_f32_e64 v19, s46, s46
	s_waitcnt lgkmcnt(0)
	v_add_f32_e32 v17, v17, v18
	v_max_f32_e32 v17, v17, v19
	v_div_scale_f32 v18, null, v17, v17, 1.0
	v_div_scale_f32 v21, vcc_lo, 1.0, v17, 1.0
	v_rcp_f32_e32 v19, v18
	v_fma_f32 v20, -v18, v19, 1.0
	v_fmac_f32_e32 v19, v20, v19
	v_mul_f32_e32 v20, v21, v19
	v_fma_f32 v22, -v18, v20, v21
	v_fmac_f32_e32 v20, v22, v19
	v_fma_f32 v18, -v18, v20, v21
	v_div_fmas_f32 v18, v18, v19, v20
	v_div_fixup_f32 v17, v18, v17, 1.0
	v_mul_f32_e32 v1, v17, v1
	v_mul_f32_e32 v2, v17, v2
	;; [unrolled: 1-line block ×16, first 2 shown]
.LBB20_40:
	v_cmp_gt_i32_e64 s0, s45, v52
	v_cmp_gt_i32_e64 s1, s45, v51
	;; [unrolled: 1-line block ×16, first 2 shown]
	s_andn2_b32 vcc_lo, exec_lo, s16
	s_cbranch_vccnz .LBB20_42
; %bb.41:
	v_max_f32_e32 v17, v1, v1
	v_max_f32_e32 v18, v2, v2
	;; [unrolled: 1-line block ×4, first 2 shown]
	v_cndmask_b32_e64 v17, 0xff800000, v17, s15
	v_max_f32_e32 v18, v17, v18
	v_cndmask_b32_e64 v17, v17, v18, s0
	v_max_f32_e32 v18, v17, v19
	v_max_f32_e32 v19, v4, v4
	v_cndmask_b32_e64 v17, v17, v18, s1
	v_max_f32_e32 v18, v17, v19
	v_max_f32_e32 v19, v5, v5
	v_cndmask_b32_e64 v17, v17, v18, s2
	v_max_f32_e32 v18, v17, v19
	v_cndmask_b32_e64 v17, v17, v18, s3
	v_max_f32_e32 v18, v6, v6
	v_max_f32_e32 v19, v17, v17
	v_max_f32_e32 v18, v19, v18
	v_cndmask_b32_e64 v17, v17, v18, s4
	v_max_f32_e32 v18, v7, v7
	v_max_f32_e32 v19, v17, v17
	v_max_f32_e32 v18, v19, v18
	;; [unrolled: 4-line block ×10, first 2 shown]
	v_xor_b32_e32 v19, 16, v53
	v_cndmask_b32_e64 v18, v17, v18, s13
	v_max_f32_e32 v17, v16, v16
	v_cmp_gt_i32_e32 vcc_lo, 32, v19
	v_max_f32_e32 v20, v18, v18
	v_cndmask_b32_e32 v19, v53, v19, vcc_lo
	v_max_f32_e32 v20, v20, v17
	v_lshlrev_b32_e32 v17, 2, v19
	v_cndmask_b32_e64 v18, v18, v20, s14
	v_xor_b32_e32 v20, 8, v53
	ds_bpermute_b32 v19, v17, v18
	v_cmp_gt_i32_e32 vcc_lo, 32, v20
	v_max_f32_e32 v21, v18, v18
	v_cndmask_b32_e32 v20, v53, v20, vcc_lo
	v_lshlrev_b32_e32 v18, 2, v20
	s_waitcnt lgkmcnt(0)
	v_max_f32_e32 v19, v19, v19
	v_max_f32_e32 v20, v21, v19
	v_xor_b32_e32 v21, 4, v53
	ds_bpermute_b32 v19, v18, v20
	v_cmp_gt_i32_e32 vcc_lo, 32, v21
	v_cndmask_b32_e32 v21, v53, v21, vcc_lo
	s_waitcnt lgkmcnt(0)
	v_max_f32_e32 v22, v19, v19
	v_lshlrev_b32_e32 v19, 2, v21
	v_max_f32_e32 v21, v20, v22
	v_xor_b32_e32 v22, 2, v53
	ds_bpermute_b32 v20, v19, v21
	v_cmp_gt_i32_e32 vcc_lo, 32, v22
	v_cndmask_b32_e32 v22, v53, v22, vcc_lo
	s_waitcnt lgkmcnt(0)
	v_max_f32_e32 v23, v20, v20
	v_lshlrev_b32_e32 v20, 2, v22
	;; [unrolled: 8-line block ×3, first 2 shown]
	v_max_f32_e32 v22, v22, v24
	ds_bpermute_b32 v23, v21, v22
	s_waitcnt lgkmcnt(0)
	v_max_f32_e32 v23, v23, v23
	v_max_f32_e32 v22, v22, v23
	v_sub_f32_e32 v1, v1, v22
	v_sub_f32_e32 v2, v2, v22
	;; [unrolled: 1-line block ×16, first 2 shown]
	v_mul_f32_e32 v22, 0x3fb8aa3b, v1
	v_mul_f32_e32 v23, 0x3fb8aa3b, v2
	v_cmp_ngt_f32_e32 vcc_lo, 0xc2ce8ed0, v1
	v_cmp_nlt_f32_e64 s17, 0x42b17218, v1
	v_mul_f32_e32 v24, 0x3fb8aa3b, v3
	v_fma_f32 v55, 0x3fb8aa3b, v1, -v22
	v_rndne_f32_e32 v56, v22
	v_fma_f32 v57, 0x3fb8aa3b, v2, -v23
	v_rndne_f32_e32 v58, v23
	v_cmp_ngt_f32_e64 s16, 0xc2ce8ed0, v2
	v_fmac_f32_e32 v55, 0x32a5705f, v1
	v_sub_f32_e32 v1, v22, v56
	v_cmp_nlt_f32_e64 s18, 0x42b17218, v2
	v_fmac_f32_e32 v57, 0x32a5705f, v2
	v_sub_f32_e32 v2, v23, v58
	v_fma_f32 v59, 0x3fb8aa3b, v3, -v24
	v_add_f32_e32 v1, v1, v55
	v_rndne_f32_e32 v60, v24
	v_mul_f32_e32 v25, 0x3fb8aa3b, v4
	v_add_f32_e32 v2, v2, v57
	v_cmp_ngt_f32_e64 s19, 0xc2ce8ed0, v3
	v_exp_f32_e32 v1, v1
	v_cmp_nlt_f32_e64 s20, 0x42b17218, v3
	v_fmac_f32_e32 v59, 0x32a5705f, v3
	v_sub_f32_e32 v3, v24, v60
	v_exp_f32_e32 v2, v2
	v_cvt_i32_f32_e32 v24, v56
	v_fma_f32 v61, 0x3fb8aa3b, v4, -v25
	v_rndne_f32_e32 v62, v25
	v_add_f32_e32 v3, v3, v59
	v_cvt_i32_f32_e32 v58, v58
	v_ldexp_f32 v1, v1, v24
	v_mul_f32_e32 v26, 0x3fb8aa3b, v5
	v_cmp_ngt_f32_e64 s21, 0xc2ce8ed0, v4
	v_cmp_nlt_f32_e64 s22, 0x42b17218, v4
	v_fmac_f32_e32 v61, 0x32a5705f, v4
	v_sub_f32_e32 v4, v25, v62
	v_exp_f32_e32 v3, v3
	v_ldexp_f32 v2, v2, v58
	v_cndmask_b32_e32 v1, 0, v1, vcc_lo
	v_mul_f32_e32 v27, 0x3fb8aa3b, v6
	v_fma_f32 v63, 0x3fb8aa3b, v5, -v26
	v_rndne_f32_e32 v64, v26
	v_cvt_i32_f32_e32 v24, v60
	v_add_f32_e32 v4, v4, v61
	v_cndmask_b32_e64 v2, 0, v2, s16
	v_cndmask_b32_e64 v1, 0x7f800000, v1, s17
	v_cmp_ngt_f32_e64 s23, 0xc2ce8ed0, v5
	v_cmp_nlt_f32_e64 s24, 0x42b17218, v5
	v_fma_f32 v65, 0x3fb8aa3b, v6, -v27
	v_fmac_f32_e32 v63, 0x32a5705f, v5
	v_sub_f32_e32 v5, v26, v64
	v_exp_f32_e32 v4, v4
	v_ldexp_f32 v3, v3, v24
	v_cndmask_b32_e64 v2, 0x7f800000, v2, s18
	v_cndmask_b32_e64 v1, 0, v1, s15
	v_mul_f32_e32 v28, 0x3fb8aa3b, v7
	v_cmp_ngt_f32_e64 s25, 0xc2ce8ed0, v6
	v_cmp_nlt_f32_e64 s26, 0x42b17218, v6
	v_rndne_f32_e32 v66, v27
	v_cvt_i32_f32_e32 v24, v62
	v_add_f32_e32 v5, v5, v63
	v_fmac_f32_e32 v65, 0x32a5705f, v6
	v_cndmask_b32_e64 v3, 0, v3, s19
	v_add_f32_e32 v6, v2, v1
	v_fma_f32 v67, 0x3fb8aa3b, v7, -v28
	v_sub_f32_e32 v25, v27, v66
	v_exp_f32_e32 v5, v5
	v_ldexp_f32 v4, v4, v24
	v_cndmask_b32_e64 v3, 0x7f800000, v3, s20
	v_cndmask_b32_e64 v6, v1, v6, s0
	v_mul_f32_e32 v29, 0x3fb8aa3b, v8
	v_cmp_ngt_f32_e64 s27, 0xc2ce8ed0, v7
	v_cmp_nlt_f32_e64 s28, 0x42b17218, v7
	v_rndne_f32_e32 v68, v28
	v_cvt_i32_f32_e32 v24, v64
	v_add_f32_e32 v25, v25, v65
	v_fmac_f32_e32 v67, 0x32a5705f, v7
	v_cndmask_b32_e64 v4, 0, v4, s21
	v_add_f32_e32 v7, v6, v3
	v_fma_f32 v69, 0x3fb8aa3b, v8, -v29
	;; [unrolled: 15-line block ×7, first 2 shown]
	v_sub_f32_e32 v26, v33, v78
	v_exp_f32_e32 v24, v24
	v_ldexp_f32 v11, v25, v11
	v_cndmask_b32_e64 v10, 0x7f800000, v10, s33
	v_cndmask_b32_e64 v6, v6, v12, s6
	v_cmp_ngt_f32_e64 s40, 0xc2ce8ed0, v13
	v_cmp_nlt_f32_e64 s41, 0x42b17218, v13
	v_rndne_f32_e32 v79, v35
	v_cvt_i32_f32_e32 v12, v76
	v_add_f32_e32 v25, v26, v77
	v_fmac_f32_e32 v22, 0x32a5705f, v13
	v_cndmask_b32_e64 v11, 0, v11, s34
	v_add_f32_e32 v13, v6, v10
	v_mul_f32_e32 v36, 0x3fb8aa3b, v14
	v_sub_f32_e32 v26, v35, v79
	v_exp_f32_e32 v25, v25
	v_ldexp_f32 v12, v24, v12
	v_cndmask_b32_e64 v11, 0x7f800000, v11, s35
	v_cndmask_b32_e64 v6, v6, v13, s7
	v_fma_f32 v23, 0x3fb8aa3b, v14, -v36
	v_rndne_f32_e32 v55, v36
	v_cvt_i32_f32_e32 v13, v78
	v_add_f32_e32 v22, v26, v22
	v_cndmask_b32_e64 v12, 0, v12, s36
	v_add_f32_e32 v24, v6, v11
	v_mul_f32_e32 v53, 0x3fb8aa3b, v15
	v_fmac_f32_e32 v23, 0x32a5705f, v14
	v_sub_f32_e32 v26, v36, v55
	v_exp_f32_e32 v22, v22
	v_ldexp_f32 v13, v25, v13
	v_cndmask_b32_e64 v12, 0x7f800000, v12, s37
	v_cndmask_b32_e64 v6, v6, v24, s8
	v_fma_f32 v80, 0x3fb8aa3b, v15, -v53
	v_rndne_f32_e32 v57, v53
	v_cvt_i32_f32_e32 v24, v79
	v_add_f32_e32 v23, v26, v23
	v_cndmask_b32_e64 v13, 0, v13, s38
	v_add_f32_e32 v25, v6, v12
	v_mul_f32_e32 v54, 0x3fb8aa3b, v16
	v_fmac_f32_e32 v80, 0x32a5705f, v15
	v_sub_f32_e32 v26, v53, v57
	v_exp_f32_e32 v23, v23
	v_ldexp_f32 v22, v22, v24
	v_cndmask_b32_e64 v13, 0x7f800000, v13, s39
	v_cndmask_b32_e64 v6, v6, v25, s9
	v_fma_f32 v56, 0x3fb8aa3b, v16, -v54
	v_rndne_f32_e32 v81, v54
	v_cvt_i32_f32_e32 v24, v55
	v_add_f32_e32 v25, v26, v80
	v_cndmask_b32_e64 v22, 0, v22, s40
	v_add_f32_e32 v26, v6, v13
	v_cmp_ngt_f32_e64 s42, 0xc2ce8ed0, v14
	v_fmac_f32_e32 v56, 0x32a5705f, v16
	v_sub_f32_e32 v27, v54, v81
	v_exp_f32_e32 v25, v25
	v_ldexp_f32 v23, v23, v24
	v_cndmask_b32_e64 v22, 0x7f800000, v22, s41
	v_cndmask_b32_e64 v6, v6, v26, s10
	v_cmp_nlt_f32_e32 vcc_lo, 0x42b17218, v14
	v_add_f32_e32 v14, v27, v56
	v_cvt_i32_f32_e32 v24, v57
	v_cndmask_b32_e64 v23, 0, v23, s42
	v_add_f32_e32 v26, v6, v22
	v_cmp_ngt_f32_e64 s16, 0xc2ce8ed0, v15
	v_exp_f32_e32 v14, v14
	v_ldexp_f32 v24, v25, v24
	v_cndmask_b32_e32 v23, 0x7f800000, v23, vcc_lo
	v_cndmask_b32_e64 v6, v6, v26, s11
	v_cmp_nlt_f32_e32 vcc_lo, 0x42b17218, v15
	v_cvt_i32_f32_e32 v15, v81
	v_cndmask_b32_e64 v24, 0, v24, s16
	v_cmp_ngt_f32_e64 s16, 0xc2ce8ed0, v16
	v_add_f32_e32 v25, v6, v23
	v_cndmask_b32_e64 v2, 0, v2, s0
	v_ldexp_f32 v14, v14, v15
	v_cndmask_b32_e32 v15, 0x7f800000, v24, vcc_lo
	v_cmp_nlt_f32_e32 vcc_lo, 0x42b17218, v16
	v_cndmask_b32_e64 v6, v6, v25, s12
	v_cndmask_b32_e64 v3, 0, v3, s1
	;; [unrolled: 1-line block ×5, first 2 shown]
	v_add_f32_e32 v16, v6, v15
	v_cndmask_b32_e64 v7, 0, v7, s4
	v_cndmask_b32_e32 v14, 0x7f800000, v14, vcc_lo
	v_cndmask_b32_e64 v8, 0, v8, s5
	v_cndmask_b32_e64 v9, 0, v9, s6
	;; [unrolled: 1-line block ×7, first 2 shown]
	v_add_f32_e32 v16, v6, v14
	v_cndmask_b32_e64 v15, 0, v15, s13
	v_cndmask_b32_e64 v6, v6, v16, s14
	ds_bpermute_b32 v16, v17, v6
	s_waitcnt lgkmcnt(0)
	v_add_f32_e32 v6, v6, v16
	ds_bpermute_b32 v16, v18, v6
	s_waitcnt lgkmcnt(0)
	v_add_f32_e32 v6, v6, v16
	ds_bpermute_b32 v16, v19, v6
	s_waitcnt lgkmcnt(0)
	v_add_f32_e32 v6, v6, v16
	ds_bpermute_b32 v16, v20, v6
	s_waitcnt lgkmcnt(0)
	v_add_f32_e32 v6, v6, v16
	ds_bpermute_b32 v16, v21, v6
	s_waitcnt lgkmcnt(0)
	v_add_f32_e32 v6, v6, v16
	v_div_scale_f32 v16, null, v6, v6, 1.0
	v_div_scale_f32 v19, vcc_lo, 1.0, v6, 1.0
	v_rcp_f32_e32 v17, v16
	v_fma_f32 v18, -v16, v17, 1.0
	v_fmac_f32_e32 v17, v18, v17
	v_mul_f32_e32 v18, v19, v17
	v_fma_f32 v20, -v16, v18, v19
	v_fmac_f32_e32 v18, v20, v17
	v_fma_f32 v16, -v16, v18, v19
	v_div_fmas_f32 v16, v16, v17, v18
	v_cndmask_b32_e64 v17, 0, v23, s12
	v_cndmask_b32_e64 v18, 0, v14, s14
	v_div_fixup_f32 v6, v16, v6, 1.0
	v_cndmask_b32_e64 v16, 0, v22, s11
	v_mul_f32_e32 v14, v1, v6
	v_mul_f32_e32 v19, v2, v6
	;; [unrolled: 1-line block ×16, first 2 shown]
	v_cndmask_b32_e64 v1, v1, v14, s15
	v_cndmask_b32_e64 v2, v2, v19, s0
	v_cndmask_b32_e64 v3, v3, v20, s1
	v_cndmask_b32_e64 v4, v4, v21, s2
	v_cndmask_b32_e64 v5, v5, v22, s3
	v_cndmask_b32_e64 v6, v7, v23, s4
	v_cndmask_b32_e64 v7, v8, v24, s5
	v_cndmask_b32_e64 v8, v9, v25, s6
	v_cndmask_b32_e64 v9, v10, v26, s7
	v_cndmask_b32_e64 v10, v11, v27, s8
	v_cndmask_b32_e64 v11, v12, v28, s9
	v_cndmask_b32_e64 v12, v13, v29, s10
	v_cndmask_b32_e64 v13, v16, v30, s11
	v_cndmask_b32_e64 v14, v17, v31, s12
	v_cndmask_b32_e64 v15, v15, v32, s13
	v_cndmask_b32_e64 v16, v18, v33, s14
.LBB20_42:
	v_mul_lo_u32 v17, v34, s45
	s_mov_b32 s0, exec_lo
	v_ashrrev_i32_e32 v18, 31, v17
	v_lshlrev_b64 v[17:18], 2, v[17:18]
	v_add_co_u32 v17, vcc_lo, s50, v17
	v_add_co_ci_u32_e64 v18, null, s51, v18, vcc_lo
	v_cmpx_gt_i32_e64 s45, v0
	s_cbranch_execnz .LBB20_60
; %bb.43:
	s_or_b32 exec_lo, exec_lo, s0
	s_mov_b32 s0, exec_lo
	v_cmpx_gt_i32_e64 s45, v52
	s_cbranch_execnz .LBB20_61
.LBB20_44:
	s_or_b32 exec_lo, exec_lo, s0
	s_mov_b32 s0, exec_lo
	v_cmpx_gt_i32_e64 s45, v51
	s_cbranch_execnz .LBB20_62
.LBB20_45:
	s_or_b32 exec_lo, exec_lo, s0
	s_mov_b32 s0, exec_lo
	v_cmpx_gt_i32_e64 s45, v50
	s_cbranch_execnz .LBB20_63
.LBB20_46:
	s_or_b32 exec_lo, exec_lo, s0
	s_mov_b32 s0, exec_lo
	v_cmpx_gt_i32_e64 s45, v49
	s_cbranch_execnz .LBB20_64
.LBB20_47:
	s_or_b32 exec_lo, exec_lo, s0
	s_mov_b32 s0, exec_lo
	v_cmpx_gt_i32_e64 s45, v48
	s_cbranch_execnz .LBB20_65
.LBB20_48:
	s_or_b32 exec_lo, exec_lo, s0
	s_mov_b32 s0, exec_lo
	v_cmpx_gt_i32_e64 s45, v47
	s_cbranch_execnz .LBB20_66
.LBB20_49:
	s_or_b32 exec_lo, exec_lo, s0
	s_mov_b32 s0, exec_lo
	v_cmpx_gt_i32_e64 s45, v46
	s_cbranch_execnz .LBB20_67
.LBB20_50:
	s_or_b32 exec_lo, exec_lo, s0
	s_mov_b32 s0, exec_lo
	v_cmpx_gt_i32_e64 s45, v45
	s_cbranch_execnz .LBB20_68
.LBB20_51:
	s_or_b32 exec_lo, exec_lo, s0
	s_mov_b32 s0, exec_lo
	v_cmpx_gt_i32_e64 s45, v44
	s_cbranch_execnz .LBB20_69
.LBB20_52:
	s_or_b32 exec_lo, exec_lo, s0
	s_mov_b32 s0, exec_lo
	v_cmpx_gt_i32_e64 s45, v43
	s_cbranch_execnz .LBB20_70
.LBB20_53:
	s_or_b32 exec_lo, exec_lo, s0
	s_mov_b32 s0, exec_lo
	v_cmpx_gt_i32_e64 s45, v42
	s_cbranch_execnz .LBB20_71
.LBB20_54:
	s_or_b32 exec_lo, exec_lo, s0
	s_mov_b32 s0, exec_lo
	v_cmpx_gt_i32_e64 s45, v41
	s_cbranch_execnz .LBB20_72
.LBB20_55:
	s_or_b32 exec_lo, exec_lo, s0
	s_mov_b32 s0, exec_lo
	v_cmpx_gt_i32_e64 s45, v40
	s_cbranch_execnz .LBB20_73
.LBB20_56:
	s_or_b32 exec_lo, exec_lo, s0
	s_mov_b32 s0, exec_lo
	v_cmpx_gt_i32_e64 s45, v39
	s_cbranch_execnz .LBB20_74
.LBB20_57:
	s_or_b32 exec_lo, exec_lo, s0
	v_cmp_gt_i32_e32 vcc_lo, s45, v38
	s_and_b32 exec_lo, exec_lo, vcc_lo
	s_cbranch_execz .LBB20_59
.LBB20_58:
	v_add_co_u32 v0, vcc_lo, v17, v37
	v_add_co_ci_u32_e64 v1, null, 0, v18, vcc_lo
	v_mul_f32_e32 v2, s47, v16
	global_store_dword v[0:1], v2, off offset:1920
.LBB20_59:
	s_endpgm
.LBB20_60:
	v_add_co_u32 v19, vcc_lo, v17, v37
	v_add_co_ci_u32_e64 v20, null, 0, v18, vcc_lo
	v_mul_f32_e32 v0, s47, v1
	global_store_dword v[19:20], v0, off
	s_or_b32 exec_lo, exec_lo, s0
	s_mov_b32 s0, exec_lo
	v_cmpx_gt_i32_e64 s45, v52
	s_cbranch_execz .LBB20_44
.LBB20_61:
	v_add_co_u32 v0, vcc_lo, v17, v37
	v_add_co_ci_u32_e64 v1, null, 0, v18, vcc_lo
	v_mul_f32_e32 v2, s47, v2
	global_store_dword v[0:1], v2, off offset:128
	s_or_b32 exec_lo, exec_lo, s0
	s_mov_b32 s0, exec_lo
	v_cmpx_gt_i32_e64 s45, v51
	s_cbranch_execz .LBB20_45
.LBB20_62:
	v_add_co_u32 v0, vcc_lo, v17, v37
	v_add_co_ci_u32_e64 v1, null, 0, v18, vcc_lo
	v_mul_f32_e32 v2, s47, v3
	global_store_dword v[0:1], v2, off offset:256
	s_or_b32 exec_lo, exec_lo, s0
	s_mov_b32 s0, exec_lo
	v_cmpx_gt_i32_e64 s45, v50
	s_cbranch_execz .LBB20_46
.LBB20_63:
	v_add_co_u32 v0, vcc_lo, v17, v37
	v_add_co_ci_u32_e64 v1, null, 0, v18, vcc_lo
	v_mul_f32_e32 v2, s47, v4
	global_store_dword v[0:1], v2, off offset:384
	s_or_b32 exec_lo, exec_lo, s0
	s_mov_b32 s0, exec_lo
	v_cmpx_gt_i32_e64 s45, v49
	s_cbranch_execz .LBB20_47
.LBB20_64:
	v_add_co_u32 v0, vcc_lo, v17, v37
	v_add_co_ci_u32_e64 v1, null, 0, v18, vcc_lo
	v_mul_f32_e32 v2, s47, v5
	global_store_dword v[0:1], v2, off offset:512
	s_or_b32 exec_lo, exec_lo, s0
	s_mov_b32 s0, exec_lo
	v_cmpx_gt_i32_e64 s45, v48
	s_cbranch_execz .LBB20_48
.LBB20_65:
	v_add_co_u32 v0, vcc_lo, v17, v37
	v_add_co_ci_u32_e64 v1, null, 0, v18, vcc_lo
	v_mul_f32_e32 v2, s47, v6
	global_store_dword v[0:1], v2, off offset:640
	s_or_b32 exec_lo, exec_lo, s0
	s_mov_b32 s0, exec_lo
	v_cmpx_gt_i32_e64 s45, v47
	s_cbranch_execz .LBB20_49
.LBB20_66:
	v_add_co_u32 v0, vcc_lo, v17, v37
	v_add_co_ci_u32_e64 v1, null, 0, v18, vcc_lo
	v_mul_f32_e32 v2, s47, v7
	global_store_dword v[0:1], v2, off offset:768
	s_or_b32 exec_lo, exec_lo, s0
	s_mov_b32 s0, exec_lo
	v_cmpx_gt_i32_e64 s45, v46
	s_cbranch_execz .LBB20_50
.LBB20_67:
	v_add_co_u32 v0, vcc_lo, v17, v37
	v_add_co_ci_u32_e64 v1, null, 0, v18, vcc_lo
	v_mul_f32_e32 v2, s47, v8
	global_store_dword v[0:1], v2, off offset:896
	s_or_b32 exec_lo, exec_lo, s0
	s_mov_b32 s0, exec_lo
	v_cmpx_gt_i32_e64 s45, v45
	s_cbranch_execz .LBB20_51
.LBB20_68:
	v_add_co_u32 v0, vcc_lo, v17, v37
	v_add_co_ci_u32_e64 v1, null, 0, v18, vcc_lo
	v_mul_f32_e32 v2, s47, v9
	global_store_dword v[0:1], v2, off offset:1024
	s_or_b32 exec_lo, exec_lo, s0
	s_mov_b32 s0, exec_lo
	v_cmpx_gt_i32_e64 s45, v44
	s_cbranch_execz .LBB20_52
.LBB20_69:
	v_add_co_u32 v0, vcc_lo, v17, v37
	v_add_co_ci_u32_e64 v1, null, 0, v18, vcc_lo
	v_mul_f32_e32 v2, s47, v10
	global_store_dword v[0:1], v2, off offset:1152
	s_or_b32 exec_lo, exec_lo, s0
	s_mov_b32 s0, exec_lo
	v_cmpx_gt_i32_e64 s45, v43
	s_cbranch_execz .LBB20_53
.LBB20_70:
	v_add_co_u32 v0, vcc_lo, v17, v37
	v_add_co_ci_u32_e64 v1, null, 0, v18, vcc_lo
	v_mul_f32_e32 v2, s47, v11
	global_store_dword v[0:1], v2, off offset:1280
	s_or_b32 exec_lo, exec_lo, s0
	s_mov_b32 s0, exec_lo
	v_cmpx_gt_i32_e64 s45, v42
	s_cbranch_execz .LBB20_54
.LBB20_71:
	v_add_co_u32 v0, vcc_lo, v17, v37
	v_add_co_ci_u32_e64 v1, null, 0, v18, vcc_lo
	v_mul_f32_e32 v2, s47, v12
	global_store_dword v[0:1], v2, off offset:1408
	s_or_b32 exec_lo, exec_lo, s0
	s_mov_b32 s0, exec_lo
	v_cmpx_gt_i32_e64 s45, v41
	s_cbranch_execz .LBB20_55
.LBB20_72:
	v_add_co_u32 v0, vcc_lo, v17, v37
	v_add_co_ci_u32_e64 v1, null, 0, v18, vcc_lo
	v_mul_f32_e32 v2, s47, v13
	global_store_dword v[0:1], v2, off offset:1536
	s_or_b32 exec_lo, exec_lo, s0
	s_mov_b32 s0, exec_lo
	v_cmpx_gt_i32_e64 s45, v40
	s_cbranch_execz .LBB20_56
.LBB20_73:
	v_add_co_u32 v0, vcc_lo, v17, v37
	v_add_co_ci_u32_e64 v1, null, 0, v18, vcc_lo
	v_mul_f32_e32 v2, s47, v14
	global_store_dword v[0:1], v2, off offset:1664
	s_or_b32 exec_lo, exec_lo, s0
	s_mov_b32 s0, exec_lo
	v_cmpx_gt_i32_e64 s45, v39
	s_cbranch_execz .LBB20_57
.LBB20_74:
	v_add_co_u32 v0, vcc_lo, v17, v37
	v_add_co_ci_u32_e64 v1, null, 0, v18, vcc_lo
	v_mul_f32_e32 v2, s47, v15
	global_store_dword v[0:1], v2, off offset:1792
	s_or_b32 exec_lo, exec_lo, s0
	v_cmp_gt_i32_e32 vcc_lo, s45, v38
	s_and_b32 exec_lo, exec_lo, vcc_lo
	s_cbranch_execnz .LBB20_58
	s_branch .LBB20_59
	.section	.rodata,"a",@progbits
	.p2align	6, 0x0
	.amdhsa_kernel _Z13topk_moe_cudaILi512ELb0EEvPKfPfPiS2_iiff15topk_moe_config
		.amdhsa_group_segment_fixed_size 0
		.amdhsa_private_segment_fixed_size 0
		.amdhsa_kernarg_size 312
		.amdhsa_user_sgpr_count 6
		.amdhsa_user_sgpr_private_segment_buffer 1
		.amdhsa_user_sgpr_dispatch_ptr 0
		.amdhsa_user_sgpr_queue_ptr 0
		.amdhsa_user_sgpr_kernarg_segment_ptr 1
		.amdhsa_user_sgpr_dispatch_id 0
		.amdhsa_user_sgpr_flat_scratch_init 0
		.amdhsa_user_sgpr_private_segment_size 0
		.amdhsa_wavefront_size32 1
		.amdhsa_uses_dynamic_stack 0
		.amdhsa_system_sgpr_private_segment_wavefront_offset 0
		.amdhsa_system_sgpr_workgroup_id_x 1
		.amdhsa_system_sgpr_workgroup_id_y 0
		.amdhsa_system_sgpr_workgroup_id_z 0
		.amdhsa_system_sgpr_workgroup_info 0
		.amdhsa_system_vgpr_workitem_id 1
		.amdhsa_next_free_vgpr 90
		.amdhsa_next_free_sgpr 52
		.amdhsa_reserve_vcc 1
		.amdhsa_reserve_flat_scratch 0
		.amdhsa_float_round_mode_32 0
		.amdhsa_float_round_mode_16_64 0
		.amdhsa_float_denorm_mode_32 3
		.amdhsa_float_denorm_mode_16_64 3
		.amdhsa_dx10_clamp 1
		.amdhsa_ieee_mode 1
		.amdhsa_fp16_overflow 0
		.amdhsa_workgroup_processor_mode 1
		.amdhsa_memory_ordered 1
		.amdhsa_forward_progress 1
		.amdhsa_shared_vgpr_count 0
		.amdhsa_exception_fp_ieee_invalid_op 0
		.amdhsa_exception_fp_denorm_src 0
		.amdhsa_exception_fp_ieee_div_zero 0
		.amdhsa_exception_fp_ieee_overflow 0
		.amdhsa_exception_fp_ieee_underflow 0
		.amdhsa_exception_fp_ieee_inexact 0
		.amdhsa_exception_int_div_zero 0
	.end_amdhsa_kernel
	.section	.text._Z13topk_moe_cudaILi512ELb0EEvPKfPfPiS2_iiff15topk_moe_config,"axG",@progbits,_Z13topk_moe_cudaILi512ELb0EEvPKfPfPiS2_iiff15topk_moe_config,comdat
.Lfunc_end20:
	.size	_Z13topk_moe_cudaILi512ELb0EEvPKfPfPiS2_iiff15topk_moe_config, .Lfunc_end20-_Z13topk_moe_cudaILi512ELb0EEvPKfPfPiS2_iiff15topk_moe_config
                                        ; -- End function
	.set _Z13topk_moe_cudaILi512ELb0EEvPKfPfPiS2_iiff15topk_moe_config.num_vgpr, 90
	.set _Z13topk_moe_cudaILi512ELb0EEvPKfPfPiS2_iiff15topk_moe_config.num_agpr, 0
	.set _Z13topk_moe_cudaILi512ELb0EEvPKfPfPiS2_iiff15topk_moe_config.numbered_sgpr, 52
	.set _Z13topk_moe_cudaILi512ELb0EEvPKfPfPiS2_iiff15topk_moe_config.num_named_barrier, 0
	.set _Z13topk_moe_cudaILi512ELb0EEvPKfPfPiS2_iiff15topk_moe_config.private_seg_size, 0
	.set _Z13topk_moe_cudaILi512ELb0EEvPKfPfPiS2_iiff15topk_moe_config.uses_vcc, 1
	.set _Z13topk_moe_cudaILi512ELb0EEvPKfPfPiS2_iiff15topk_moe_config.uses_flat_scratch, 0
	.set _Z13topk_moe_cudaILi512ELb0EEvPKfPfPiS2_iiff15topk_moe_config.has_dyn_sized_stack, 0
	.set _Z13topk_moe_cudaILi512ELb0EEvPKfPfPiS2_iiff15topk_moe_config.has_recursion, 0
	.set _Z13topk_moe_cudaILi512ELb0EEvPKfPfPiS2_iiff15topk_moe_config.has_indirect_call, 0
	.section	.AMDGPU.csdata,"",@progbits
; Kernel info:
; codeLenInByte = 11540
; TotalNumSgprs: 54
; NumVgprs: 90
; ScratchSize: 0
; MemoryBound: 0
; FloatMode: 240
; IeeeMode: 1
; LDSByteSize: 0 bytes/workgroup (compile time only)
; SGPRBlocks: 0
; VGPRBlocks: 11
; NumSGPRsForWavesPerEU: 54
; NumVGPRsForWavesPerEU: 90
; Occupancy: 10
; WaveLimiterHint : 1
; COMPUTE_PGM_RSRC2:SCRATCH_EN: 0
; COMPUTE_PGM_RSRC2:USER_SGPR: 6
; COMPUTE_PGM_RSRC2:TRAP_HANDLER: 0
; COMPUTE_PGM_RSRC2:TGID_X_EN: 1
; COMPUTE_PGM_RSRC2:TGID_Y_EN: 0
; COMPUTE_PGM_RSRC2:TGID_Z_EN: 0
; COMPUTE_PGM_RSRC2:TIDIG_COMP_CNT: 1
	.section	.text._Z13topk_moe_cudaILi576ELb0EEvPKfPfPiS2_iiff15topk_moe_config,"axG",@progbits,_Z13topk_moe_cudaILi576ELb0EEvPKfPfPiS2_iiff15topk_moe_config,comdat
	.protected	_Z13topk_moe_cudaILi576ELb0EEvPKfPfPiS2_iiff15topk_moe_config ; -- Begin function _Z13topk_moe_cudaILi576ELb0EEvPKfPfPiS2_iiff15topk_moe_config
	.globl	_Z13topk_moe_cudaILi576ELb0EEvPKfPfPiS2_iiff15topk_moe_config
	.p2align	8
	.type	_Z13topk_moe_cudaILi576ELb0EEvPKfPfPiS2_iiff15topk_moe_config,@function
_Z13topk_moe_cudaILi576ELb0EEvPKfPfPiS2_iiff15topk_moe_config: ; @_Z13topk_moe_cudaILi576ELb0EEvPKfPfPiS2_iiff15topk_moe_config
; %bb.0:
	s_clause 0x1
	s_load_dword s0, s[4:5], 0x44
	s_load_dwordx4 s[20:23], s[4:5], 0x20
	s_waitcnt lgkmcnt(0)
	s_lshr_b32 s0, s0, 16
	v_mad_u64_u32 v[66:67], null, s6, s0, v[1:2]
	s_mov_b32 s0, exec_lo
	v_cmpx_gt_i32_e64 s20, v66
	s_cbranch_execz .LBB21_61
; %bb.1:
	s_clause 0x1
	s_load_dwordx4 s[16:19], s[4:5], 0x0
	s_load_dwordx2 s[6:7], s[4:5], 0x10
	v_mul_lo_u32 v1, 0x240, v66
	v_lshlrev_b32_e32 v67, 2, v0
	v_mov_b32_e32 v5, 0
	s_load_dword s0, s[4:5], 0x30
	v_ashrrev_i32_e32 v2, 31, v1
	v_lshlrev_b64 v[1:2], 2, v[1:2]
	s_waitcnt lgkmcnt(0)
	v_add_co_u32 v3, vcc_lo, s16, v1
	v_add_co_ci_u32_e64 v4, null, s17, v2, vcc_lo
	v_add_co_u32 v3, vcc_lo, v3, v67
	v_add_co_ci_u32_e64 v4, null, 0, v4, vcc_lo
	global_load_ushort v19, v5, s[4:5] offset:48
	s_clause 0x7
	global_load_dword v22, v[3:4], off
	global_load_dword v21, v[3:4], off offset:128
	global_load_dword v18, v[3:4], off offset:256
	;; [unrolled: 1-line block ×7, first 2 shown]
	v_add_co_u32 v23, vcc_lo, 0x800, v3
	v_add_co_ci_u32_e64 v24, null, 0, v4, vcc_lo
	s_clause 0x9
	global_load_dword v12, v[3:4], off offset:1024
	global_load_dword v11, v[3:4], off offset:1152
	;; [unrolled: 1-line block ×8, first 2 shown]
	global_load_dword v4, v[23:24], off
	global_load_dword v3, v[23:24], off offset:128
	s_waitcnt vmcnt(18)
	v_readfirstlane_b32 s1, v19
	s_and_b32 s4, 0xffff, s1
	s_bitcmp1_b32 s0, 16
	s_cselect_b32 s20, -1, 0
	s_and_b32 vcc_lo, exec_lo, s20
	s_cbranch_vccnz .LBB21_7
; %bb.2:
	v_and_b32_e32 v19, 1, v19
	v_cmp_eq_u32_e32 vcc_lo, 0, v19
	s_cbranch_vccz .LBB21_4
; %bb.3:
	s_waitcnt vmcnt(16)
	v_max3_f32 v19, v22, 0xff800000, v21
	v_mbcnt_lo_u32_b32 v25, -1, 0
	s_waitcnt vmcnt(14)
	v_max3_f32 v19, v19, v18, v17
	v_xor_b32_e32 v20, 16, v25
	v_xor_b32_e32 v24, 8, v25
	s_waitcnt vmcnt(12)
	v_max3_f32 v19, v19, v16, v15
	v_cmp_gt_i32_e32 vcc_lo, 32, v20
	s_waitcnt vmcnt(10)
	v_max3_f32 v19, v19, v14, v13
	v_cndmask_b32_e32 v20, v25, v20, vcc_lo
	v_cmp_gt_i32_e32 vcc_lo, 32, v24
	s_waitcnt vmcnt(8)
	v_max3_f32 v19, v19, v12, v11
	v_cndmask_b32_e32 v24, v25, v24, vcc_lo
	s_waitcnt vmcnt(6)
	v_max3_f32 v19, v19, v10, v9
	s_waitcnt vmcnt(4)
	v_max3_f32 v19, v19, v8, v7
	s_waitcnt vmcnt(2)
	v_max3_f32 v23, v19, v6, v5
	v_lshlrev_b32_e32 v19, 2, v20
	s_waitcnt vmcnt(0)
	v_max3_f32 v23, v23, v4, v3
	ds_bpermute_b32 v20, v19, v23
	s_waitcnt lgkmcnt(0)
	v_max_f32_e32 v26, v20, v20
	v_lshlrev_b32_e32 v20, 2, v24
	v_max_f32_e32 v24, v23, v26
	v_xor_b32_e32 v26, 4, v25
	ds_bpermute_b32 v23, v20, v24
	v_cmp_gt_i32_e32 vcc_lo, 32, v26
	v_cndmask_b32_e32 v26, v25, v26, vcc_lo
	s_waitcnt lgkmcnt(0)
	v_max_f32_e32 v27, v23, v23
	v_lshlrev_b32_e32 v23, 2, v26
	v_max_f32_e32 v26, v24, v27
	v_xor_b32_e32 v27, 2, v25
	ds_bpermute_b32 v24, v23, v26
	v_cmp_gt_i32_e32 vcc_lo, 32, v27
	v_cndmask_b32_e32 v27, v25, v27, vcc_lo
	;; [unrolled: 8-line block ×3, first 2 shown]
	v_lshlrev_b32_e32 v25, 2, v25
	s_waitcnt lgkmcnt(0)
	v_max_f32_e32 v27, v27, v27
	v_max_f32_e32 v26, v26, v27
	ds_bpermute_b32 v27, v25, v26
	s_waitcnt lgkmcnt(0)
	v_max_f32_e32 v27, v27, v27
	v_max_f32_e32 v29, v26, v27
	v_sub_f32_e32 v26, v22, v29
	v_sub_f32_e32 v27, v21, v29
	;; [unrolled: 1-line block ×5, first 2 shown]
	v_mul_f32_e32 v44, 0x3fb8aa3b, v26
	v_mul_f32_e32 v45, 0x3fb8aa3b, v27
	;; [unrolled: 1-line block ×4, first 2 shown]
	v_cmp_ngt_f32_e32 vcc_lo, 0xc2ce8ed0, v26
	v_fma_f32 v62, 0x3fb8aa3b, v26, -v44
	v_rndne_f32_e32 v63, v44
	v_fma_f32 v64, 0x3fb8aa3b, v27, -v45
	v_rndne_f32_e32 v65, v45
	v_fma_f32 v68, 0x3fb8aa3b, v28, -v46
	v_fmac_f32_e32 v62, 0x32a5705f, v26
	v_sub_f32_e32 v44, v44, v63
	v_rndne_f32_e32 v69, v46
	v_fmac_f32_e32 v64, 0x32a5705f, v27
	v_sub_f32_e32 v45, v45, v65
	v_fmac_f32_e32 v68, 0x32a5705f, v28
	v_add_f32_e32 v44, v44, v62
	v_sub_f32_e32 v46, v46, v69
	v_cvt_i32_f32_e32 v63, v63
	v_add_f32_e32 v45, v45, v64
	v_fma_f32 v70, 0x3fb8aa3b, v30, -v47
	v_exp_f32_e32 v44, v44
	v_add_f32_e32 v46, v46, v68
	v_rndne_f32_e32 v71, v47
	v_exp_f32_e32 v45, v45
	v_cvt_i32_f32_e32 v65, v65
	v_mul_f32_e32 v48, 0x3fb8aa3b, v31
	v_exp_f32_e32 v46, v46
	v_fmac_f32_e32 v70, 0x32a5705f, v30
	v_sub_f32_e32 v47, v47, v71
	v_cvt_i32_f32_e32 v69, v69
	v_ldexp_f32 v44, v44, v63
	v_sub_f32_e32 v32, v15, v29
	v_fma_f32 v72, 0x3fb8aa3b, v31, -v48
	v_ldexp_f32 v45, v45, v65
	v_rndne_f32_e32 v73, v48
	v_cndmask_b32_e32 v44, 0, v44, vcc_lo
	v_cmp_ngt_f32_e32 vcc_lo, 0xc2ce8ed0, v27
	v_add_f32_e32 v47, v47, v70
	v_ldexp_f32 v46, v46, v69
	v_mul_f32_e32 v49, 0x3fb8aa3b, v32
	v_fmac_f32_e32 v72, 0x32a5705f, v31
	v_cndmask_b32_e32 v45, 0, v45, vcc_lo
	v_cmp_ngt_f32_e32 vcc_lo, 0xc2ce8ed0, v28
	v_sub_f32_e32 v48, v48, v73
	v_exp_f32_e32 v47, v47
	v_sub_f32_e32 v33, v14, v29
	v_fma_f32 v74, 0x3fb8aa3b, v32, -v49
	v_cndmask_b32_e32 v46, 0, v46, vcc_lo
	v_cmp_nlt_f32_e32 vcc_lo, 0x42b17218, v26
	v_rndne_f32_e32 v75, v49
	v_cvt_i32_f32_e32 v71, v71
	v_add_f32_e32 v48, v48, v72
	v_mul_f32_e32 v50, 0x3fb8aa3b, v33
	v_cndmask_b32_e32 v26, 0x7f800000, v44, vcc_lo
	v_cmp_nlt_f32_e32 vcc_lo, 0x42b17218, v27
	v_fmac_f32_e32 v74, 0x32a5705f, v32
	v_sub_f32_e32 v49, v49, v75
	v_exp_f32_e32 v48, v48
	v_ldexp_f32 v47, v47, v71
	v_cndmask_b32_e32 v27, 0x7f800000, v45, vcc_lo
	v_cmp_ngt_f32_e32 vcc_lo, 0xc2ce8ed0, v30
	v_sub_f32_e32 v34, v13, v29
	v_fma_f32 v76, 0x3fb8aa3b, v33, -v50
	v_rndne_f32_e32 v77, v50
	v_cvt_i32_f32_e32 v73, v73
	v_add_f32_e32 v49, v49, v74
	v_cndmask_b32_e32 v44, 0, v47, vcc_lo
	v_cmp_nlt_f32_e32 vcc_lo, 0x42b17218, v28
	v_mul_f32_e32 v51, 0x3fb8aa3b, v34
	v_fmac_f32_e32 v76, 0x32a5705f, v33
	v_sub_f32_e32 v50, v50, v77
	v_exp_f32_e32 v49, v49
	v_ldexp_f32 v48, v48, v73
	v_cndmask_b32_e32 v28, 0x7f800000, v46, vcc_lo
	v_cmp_ngt_f32_e32 vcc_lo, 0xc2ce8ed0, v31
	v_sub_f32_e32 v35, v12, v29
	v_fma_f32 v78, 0x3fb8aa3b, v34, -v51
	v_rndne_f32_e32 v79, v51
	v_cvt_i32_f32_e32 v75, v75
	v_add_f32_e32 v50, v50, v76
	v_cndmask_b32_e32 v46, 0, v48, vcc_lo
	v_cmp_nlt_f32_e32 vcc_lo, 0x42b17218, v30
	v_mul_f32_e32 v52, 0x3fb8aa3b, v35
	v_fmac_f32_e32 v78, 0x32a5705f, v34
	v_sub_f32_e32 v51, v51, v79
	v_exp_f32_e32 v50, v50
	v_ldexp_f32 v49, v49, v75
	v_add_f32_e32 v45, v26, v27
	v_cndmask_b32_e32 v30, 0x7f800000, v44, vcc_lo
	v_cmp_ngt_f32_e32 vcc_lo, 0xc2ce8ed0, v32
	v_sub_f32_e32 v36, v11, v29
	v_fma_f32 v80, 0x3fb8aa3b, v35, -v52
	v_rndne_f32_e32 v81, v52
	v_cvt_i32_f32_e32 v77, v77
	v_add_f32_e32 v51, v51, v78
	v_add_f32_e32 v44, v28, v45
	v_cndmask_b32_e32 v45, 0, v49, vcc_lo
	v_cmp_nlt_f32_e32 vcc_lo, 0x42b17218, v31
	v_mul_f32_e32 v53, 0x3fb8aa3b, v36
	v_fmac_f32_e32 v80, 0x32a5705f, v35
	v_sub_f32_e32 v52, v52, v81
	v_exp_f32_e32 v51, v51
	v_ldexp_f32 v50, v50, v77
	v_cndmask_b32_e32 v31, 0x7f800000, v46, vcc_lo
	v_cmp_ngt_f32_e32 vcc_lo, 0xc2ce8ed0, v33
	v_sub_f32_e32 v37, v10, v29
	v_fma_f32 v82, 0x3fb8aa3b, v36, -v53
	v_rndne_f32_e32 v83, v53
	v_cvt_i32_f32_e32 v79, v79
	v_add_f32_e32 v52, v52, v80
	v_cndmask_b32_e32 v46, 0, v50, vcc_lo
	v_cmp_nlt_f32_e32 vcc_lo, 0x42b17218, v32
	v_mul_f32_e32 v54, 0x3fb8aa3b, v37
	v_fmac_f32_e32 v82, 0x32a5705f, v36
	v_sub_f32_e32 v53, v53, v83
	v_exp_f32_e32 v52, v52
	v_ldexp_f32 v51, v51, v79
	v_cndmask_b32_e32 v32, 0x7f800000, v45, vcc_lo
	v_cmp_ngt_f32_e32 vcc_lo, 0xc2ce8ed0, v34
	v_sub_f32_e32 v38, v9, v29
	v_fma_f32 v84, 0x3fb8aa3b, v37, -v54
	v_rndne_f32_e32 v85, v54
	v_cvt_i32_f32_e32 v81, v81
	;; [unrolled: 14-line block ×6, first 2 shown]
	v_add_f32_e32 v57, v57, v90
	v_cndmask_b32_e32 v45, 0, v55, vcc_lo
	v_cmp_nlt_f32_e32 vcc_lo, 0x42b17218, v37
	v_mul_f32_e32 v59, 0x3fb8aa3b, v42
	v_fmac_f32_e32 v92, 0x32a5705f, v41
	v_sub_f32_e32 v58, v58, v93
	v_exp_f32_e32 v57, v57
	v_ldexp_f32 v56, v56, v89
	v_add_f32_e32 v44, v30, v44
	v_cndmask_b32_e32 v37, 0x7f800000, v46, vcc_lo
	v_cmp_ngt_f32_e32 vcc_lo, 0xc2ce8ed0, v39
	v_sub_f32_e32 v43, v4, v29
	v_fma_f32 v94, 0x3fb8aa3b, v42, -v59
	v_rndne_f32_e32 v95, v59
	v_cvt_i32_f32_e32 v91, v91
	v_add_f32_e32 v58, v58, v92
	v_add_f32_e32 v44, v31, v44
	v_cndmask_b32_e32 v46, 0, v56, vcc_lo
	v_cmp_nlt_f32_e32 vcc_lo, 0x42b17218, v38
	v_mul_f32_e32 v60, 0x3fb8aa3b, v43
	v_fmac_f32_e32 v94, 0x32a5705f, v42
	v_sub_f32_e32 v59, v59, v95
	v_exp_f32_e32 v58, v58
	v_ldexp_f32 v57, v57, v91
	v_add_f32_e32 v44, v32, v44
	v_cndmask_b32_e32 v38, 0x7f800000, v45, vcc_lo
	v_cmp_ngt_f32_e32 vcc_lo, 0xc2ce8ed0, v40
	v_sub_f32_e32 v29, v3, v29
	v_fma_f32 v96, 0x3fb8aa3b, v43, -v60
	v_rndne_f32_e32 v97, v60
	v_cvt_i32_f32_e32 v93, v93
	v_add_f32_e32 v59, v59, v94
	v_add_f32_e32 v44, v33, v44
	v_cndmask_b32_e32 v45, 0, v57, vcc_lo
	v_cmp_nlt_f32_e32 vcc_lo, 0x42b17218, v39
	v_mul_f32_e32 v61, 0x3fb8aa3b, v29
	v_fmac_f32_e32 v96, 0x32a5705f, v43
	v_sub_f32_e32 v60, v60, v97
	v_exp_f32_e32 v59, v59
	v_ldexp_f32 v58, v58, v93
	v_add_f32_e32 v44, v34, v44
	v_cndmask_b32_e32 v39, 0x7f800000, v46, vcc_lo
	v_cmp_ngt_f32_e32 vcc_lo, 0xc2ce8ed0, v41
	v_fma_f32 v98, 0x3fb8aa3b, v29, -v61
	v_rndne_f32_e32 v99, v61
	v_cvt_i32_f32_e32 v95, v95
	v_add_f32_e32 v60, v60, v96
	v_add_f32_e32 v44, v35, v44
	v_cndmask_b32_e32 v46, 0, v58, vcc_lo
	v_cmp_nlt_f32_e32 vcc_lo, 0x42b17218, v40
	v_fmac_f32_e32 v98, 0x32a5705f, v29
	v_sub_f32_e32 v61, v61, v99
	v_exp_f32_e32 v60, v60
	v_ldexp_f32 v59, v59, v95
	v_add_f32_e32 v44, v36, v44
	v_cndmask_b32_e32 v40, 0x7f800000, v45, vcc_lo
	v_cmp_ngt_f32_e32 vcc_lo, 0xc2ce8ed0, v42
	v_cvt_i32_f32_e32 v97, v97
	v_add_f32_e32 v61, v61, v98
	v_add_f32_e32 v44, v37, v44
	v_cvt_i32_f32_e32 v99, v99
	v_cndmask_b32_e32 v45, 0, v59, vcc_lo
	v_cmp_nlt_f32_e32 vcc_lo, 0x42b17218, v41
	v_exp_f32_e32 v61, v61
	v_ldexp_f32 v60, v60, v97
	v_add_f32_e32 v44, v38, v44
	v_cndmask_b32_e32 v41, 0x7f800000, v46, vcc_lo
	v_cmp_ngt_f32_e32 vcc_lo, 0xc2ce8ed0, v43
	v_add_f32_e32 v44, v39, v44
	v_cndmask_b32_e32 v46, 0, v60, vcc_lo
	v_cmp_nlt_f32_e32 vcc_lo, 0x42b17218, v42
	v_ldexp_f32 v61, v61, v99
	v_add_f32_e32 v44, v40, v44
	v_cndmask_b32_e32 v42, 0x7f800000, v45, vcc_lo
	v_cmp_ngt_f32_e32 vcc_lo, 0xc2ce8ed0, v29
	v_add_f32_e32 v44, v41, v44
	v_cndmask_b32_e32 v45, 0, v61, vcc_lo
	v_cmp_nlt_f32_e32 vcc_lo, 0x42b17218, v43
	v_add_f32_e32 v44, v42, v44
	v_cndmask_b32_e32 v43, 0x7f800000, v46, vcc_lo
	v_cmp_nlt_f32_e32 vcc_lo, 0x42b17218, v29
	v_add_f32_e32 v29, v43, v44
	v_cndmask_b32_e32 v45, 0x7f800000, v45, vcc_lo
	v_add_f32_e32 v29, v45, v29
	ds_bpermute_b32 v19, v19, v29
	s_waitcnt lgkmcnt(0)
	v_add_f32_e32 v19, v29, v19
	ds_bpermute_b32 v20, v20, v19
	s_waitcnt lgkmcnt(0)
	;; [unrolled: 3-line block ×5, first 2 shown]
	v_add_f32_e32 v19, v19, v20
	v_div_scale_f32 v20, null, v19, v19, 1.0
	v_div_scale_f32 v25, vcc_lo, 1.0, v19, 1.0
	v_rcp_f32_e32 v23, v20
	v_fma_f32 v24, -v20, v23, 1.0
	v_fmac_f32_e32 v23, v24, v23
	v_mul_f32_e32 v24, v25, v23
	v_fma_f32 v29, -v20, v24, v25
	v_fmac_f32_e32 v24, v29, v23
	v_fma_f32 v20, -v20, v24, v25
	v_div_fmas_f32 v20, v20, v23, v24
	v_div_fixup_f32 v44, v20, v19, 1.0
	v_mul_f32_e32 v19, v26, v44
	v_mul_f32_e32 v20, v27, v44
	;; [unrolled: 1-line block ×18, first 2 shown]
	s_cbranch_execz .LBB21_5
	s_branch .LBB21_6
.LBB21_4:
                                        ; implicit-def: $vgpr34
                                        ; implicit-def: $vgpr35
                                        ; implicit-def: $vgpr36
                                        ; implicit-def: $vgpr37
                                        ; implicit-def: $vgpr38
                                        ; implicit-def: $vgpr31
                                        ; implicit-def: $vgpr32
                                        ; implicit-def: $vgpr33
                                        ; implicit-def: $vgpr30
                                        ; implicit-def: $vgpr29
                                        ; implicit-def: $vgpr28
                                        ; implicit-def: $vgpr26
                                        ; implicit-def: $vgpr27
                                        ; implicit-def: $vgpr25
                                        ; implicit-def: $vgpr24
                                        ; implicit-def: $vgpr23
                                        ; implicit-def: $vgpr20
                                        ; implicit-def: $vgpr19
.LBB21_5:
	s_waitcnt vmcnt(17)
	v_mul_f32_e32 v19, 0xbfb8aa3b, v22
	s_waitcnt vmcnt(16)
	v_mul_f32_e32 v20, 0xbfb8aa3b, v21
	;; [unrolled: 2-line block ×3, first 2 shown]
	v_cmp_nlt_f32_e32 vcc_lo, 0x42ce8ed0, v22
	s_waitcnt vmcnt(14)
	v_mul_f32_e32 v26, 0xbfb8aa3b, v17
	v_rndne_f32_e32 v24, v19
	v_fma_f32 v25, 0xbfb8aa3b, v22, -v19
	v_rndne_f32_e32 v27, v20
	v_fma_f32 v28, 0xbfb8aa3b, v21, -v20
	v_rndne_f32_e32 v30, v23
	v_sub_f32_e32 v19, v19, v24
	v_fmac_f32_e32 v25, 0xb2a5705f, v22
	v_sub_f32_e32 v20, v20, v27
	v_fmac_f32_e32 v28, 0xb2a5705f, v21
	v_cvt_i32_f32_e32 v24, v24
	v_rndne_f32_e32 v31, v26
	v_add_f32_e32 v19, v19, v25
	v_fma_f32 v25, 0xbfb8aa3b, v18, -v23
	v_add_f32_e32 v20, v20, v28
	v_sub_f32_e32 v23, v23, v30
	v_fma_f32 v28, 0xbfb8aa3b, v17, -v26
	v_exp_f32_e32 v19, v19
	v_fmac_f32_e32 v25, 0xb2a5705f, v18
	v_exp_f32_e32 v20, v20
	v_sub_f32_e32 v26, v26, v31
	v_fmac_f32_e32 v28, 0xb2a5705f, v17
	s_waitcnt vmcnt(13)
	v_mul_f32_e32 v29, 0xbfb8aa3b, v16
	v_add_f32_e32 v23, v23, v25
	v_cvt_i32_f32_e32 v25, v27
	v_cmp_nlt_f32_e64 s0, 0x42ce8ed0, v17
	v_cmp_ngt_f32_e64 s1, 0xc2b17218, v17
	v_ldexp_f32 v19, v19, v24
	v_exp_f32_e32 v23, v23
	v_ldexp_f32 v20, v20, v25
	v_cvt_i32_f32_e32 v24, v30
	v_add_f32_e32 v25, v26, v28
	v_cndmask_b32_e32 v19, 0, v19, vcc_lo
	v_cmp_nlt_f32_e32 vcc_lo, 0x42ce8ed0, v21
	v_rndne_f32_e32 v32, v29
	v_cvt_i32_f32_e32 v26, v31
	v_cndmask_b32_e32 v20, 0, v20, vcc_lo
	v_cmp_ngt_f32_e32 vcc_lo, 0xc2b17218, v22
	v_ldexp_f32 v22, v23, v24
	v_sub_f32_e32 v28, v29, v32
	v_cndmask_b32_e32 v19, 0x7f800000, v19, vcc_lo
	v_cmp_ngt_f32_e32 vcc_lo, 0xc2b17218, v21
	v_exp_f32_e32 v21, v25
	v_fma_f32 v25, 0xbfb8aa3b, v16, -v29
	v_add_f32_e32 v19, 1.0, v19
	v_cndmask_b32_e32 v20, 0x7f800000, v20, vcc_lo
	v_cmp_nlt_f32_e32 vcc_lo, 0x42ce8ed0, v18
	v_fmac_f32_e32 v25, 0xb2a5705f, v16
	v_div_scale_f32 v23, null, v19, v19, 1.0
	v_cndmask_b32_e32 v22, 0, v22, vcc_lo
	v_add_f32_e32 v20, 1.0, v20
	v_cmp_ngt_f32_e32 vcc_lo, 0xc2b17218, v18
	v_rcp_f32_e32 v24, v23
	v_ldexp_f32 v21, v21, v26
	v_add_f32_e32 v25, v28, v25
	v_cndmask_b32_e32 v18, 0x7f800000, v22, vcc_lo
	v_div_scale_f32 v22, null, v20, v20, 1.0
	v_div_scale_f32 v30, vcc_lo, 1.0, v19, 1.0
	v_add_f32_e32 v18, 1.0, v18
	v_rcp_f32_e32 v27, v22
	v_fma_f32 v26, -v23, v24, 1.0
	v_cndmask_b32_e64 v21, 0, v21, s0
	v_div_scale_f32 v29, null, v18, v18, 1.0
	v_fmac_f32_e32 v24, v26, v24
	v_div_scale_f32 v26, s0, 1.0, v20, 1.0
	v_rcp_f32_e32 v31, v29
	v_fma_f32 v33, -v22, v27, 1.0
	v_cndmask_b32_e64 v17, 0x7f800000, v21, s1
	v_div_scale_f32 v36, s1, 1.0, v18, 1.0
	v_fmac_f32_e32 v27, v33, v27
	v_mul_f32_e32 v33, v30, v24
	v_add_f32_e32 v17, 1.0, v17
	v_fma_f32 v21, -v29, v31, 1.0
	v_mul_f32_e32 v34, v26, v27
	v_fma_f32 v35, -v23, v33, v30
	v_fmac_f32_e32 v31, v21, v31
	v_fma_f32 v21, -v22, v34, v26
	v_fmac_f32_e32 v33, v35, v24
	v_mul_f32_e32 v28, v36, v31
	v_fmac_f32_e32 v34, v21, v27
	v_fma_f32 v21, -v23, v33, v30
	v_exp_f32_e32 v23, v25
	v_div_scale_f32 v25, null, v17, v17, 1.0
	v_fma_f32 v22, -v22, v34, v26
	v_div_fmas_f32 v21, v21, v24, v33
	v_cvt_i32_f32_e32 v24, v32
	s_mov_b32 vcc_lo, s0
	v_rcp_f32_e32 v30, v25
	v_div_fmas_f32 v22, v22, v27, v34
	v_div_fixup_f32 v19, v21, v19, 1.0
	v_ldexp_f32 v21, v23, v24
	s_waitcnt vmcnt(12)
	v_mul_f32_e32 v23, 0xbfb8aa3b, v15
	v_cmp_nlt_f32_e32 vcc_lo, 0x42ce8ed0, v16
	v_fma_f32 v32, -v29, v28, v36
	v_div_fixup_f32 v20, v22, v20, 1.0
	v_rndne_f32_e32 v24, v23
	v_cndmask_b32_e32 v21, 0, v21, vcc_lo
	v_fma_f32 v26, 0xbfb8aa3b, v15, -v23
	v_cmp_ngt_f32_e32 vcc_lo, 0xc2b17218, v16
	v_fmac_f32_e32 v28, v32, v31
	v_fma_f32 v27, -v25, v30, 1.0
	v_fmac_f32_e32 v26, 0xb2a5705f, v15
	v_cndmask_b32_e32 v16, 0x7f800000, v21, vcc_lo
	v_sub_f32_e32 v21, v23, v24
	v_fma_f32 v22, -v29, v28, v36
	s_waitcnt vmcnt(11)
	v_mul_f32_e32 v29, 0xbfb8aa3b, v14
	s_mov_b32 vcc_lo, s1
	v_fmac_f32_e32 v30, v27, v30
	v_add_f32_e32 v21, v21, v26
	v_div_scale_f32 v26, s0, 1.0, v17, 1.0
	v_div_fmas_f32 v22, v22, v31, v28
	v_cvt_i32_f32_e32 v24, v24
	v_exp_f32_e32 v21, v21
	v_rndne_f32_e32 v32, v29
	v_fma_f32 v33, 0xbfb8aa3b, v14, -v29
	v_mul_f32_e32 v28, v26, v30
	v_div_fixup_f32 v23, v22, v18, 1.0
	v_cmp_nlt_f32_e32 vcc_lo, 0x42ce8ed0, v15
	v_add_f32_e32 v16, 1.0, v16
	v_fmac_f32_e32 v33, 0xb2a5705f, v14
	v_fma_f32 v34, -v25, v28, v26
	v_ldexp_f32 v18, v21, v24
	v_sub_f32_e32 v21, v29, v32
	v_div_scale_f32 v27, null, v16, v16, 1.0
	v_fmac_f32_e32 v28, v34, v30
	v_cndmask_b32_e32 v18, 0, v18, vcc_lo
	v_add_f32_e32 v21, v21, v33
	v_cmp_ngt_f32_e32 vcc_lo, 0xc2b17218, v15
	v_rcp_f32_e32 v31, v27
	v_fma_f32 v24, -v25, v28, v26
	v_cvt_i32_f32_e32 v25, v32
	v_cndmask_b32_e32 v15, 0x7f800000, v18, vcc_lo
	v_exp_f32_e32 v18, v21
	s_waitcnt vmcnt(10)
	v_mul_f32_e32 v21, 0xbfb8aa3b, v13
	v_cmp_nlt_f32_e32 vcc_lo, 0x42ce8ed0, v14
	v_add_f32_e32 v15, 1.0, v15
	v_fma_f32 v22, -v27, v31, 1.0
	v_rndne_f32_e32 v26, v21
	v_fma_f32 v29, 0xbfb8aa3b, v13, -v21
	v_div_scale_f32 v32, null, v15, v15, 1.0
	v_ldexp_f32 v18, v18, v25
	v_sub_f32_e32 v21, v21, v26
	v_fmac_f32_e32 v29, 0xb2a5705f, v13
	v_fmac_f32_e32 v31, v22, v31
	v_div_scale_f32 v22, s1, 1.0, v16, 1.0
	v_cndmask_b32_e32 v18, 0, v18, vcc_lo
	s_mov_b32 vcc_lo, s0
	v_add_f32_e32 v21, v21, v29
	v_div_fmas_f32 v24, v24, v30, v28
	v_cmp_ngt_f32_e32 vcc_lo, 0xc2b17218, v14
	v_cvt_i32_f32_e32 v26, v26
	v_mul_f32_e32 v25, v22, v31
	v_rcp_f32_e32 v33, v32
	v_div_fixup_f32 v24, v24, v17, 1.0
	v_cndmask_b32_e32 v14, 0x7f800000, v18, vcc_lo
	v_exp_f32_e32 v18, v21
	s_waitcnt vmcnt(9)
	v_mul_f32_e32 v21, 0xbfb8aa3b, v12
	v_cmp_nlt_f32_e32 vcc_lo, 0x42ce8ed0, v13
	v_fma_f32 v28, -v27, v25, v22
	v_add_f32_e32 v14, 1.0, v14
	v_rndne_f32_e32 v29, v21
	v_fma_f32 v30, 0xbfb8aa3b, v12, -v21
	v_fmac_f32_e32 v25, v28, v31
	v_fma_f32 v28, -v32, v33, 1.0
	v_ldexp_f32 v18, v18, v26
	v_sub_f32_e32 v21, v21, v29
	v_fmac_f32_e32 v30, 0xb2a5705f, v12
	v_div_scale_f32 v34, null, v14, v14, 1.0
	v_cndmask_b32_e32 v18, 0, v18, vcc_lo
	v_cmp_ngt_f32_e32 vcc_lo, 0xc2b17218, v13
	v_add_f32_e32 v21, v21, v30
	v_fmac_f32_e32 v33, v28, v33
	v_rcp_f32_e32 v26, v34
	v_div_scale_f32 v28, s0, 1.0, v15, 1.0
	v_cndmask_b32_e32 v13, 0x7f800000, v18, vcc_lo
	v_exp_f32_e32 v17, v21
	v_fma_f32 v21, -v27, v25, v22
	v_cvt_i32_f32_e32 v27, v29
	v_mul_f32_e32 v18, v28, v33
	v_add_f32_e32 v13, 1.0, v13
	v_cmp_nlt_f32_e32 vcc_lo, 0x42ce8ed0, v12
	v_fma_f32 v22, -v34, v26, 1.0
	v_fma_f32 v29, -v32, v18, v28
	v_div_scale_f32 v30, null, v13, v13, 1.0
	v_ldexp_f32 v17, v17, v27
	v_fmac_f32_e32 v26, v22, v26
	v_div_scale_f32 v22, s2, 1.0, v14, 1.0
	v_rcp_f32_e32 v35, v30
	v_cndmask_b32_e32 v17, 0, v17, vcc_lo
	s_mov_b32 vcc_lo, s1
	v_fmac_f32_e32 v18, v29, v33
	v_div_fmas_f32 v21, v21, v31, v25
	v_cmp_ngt_f32_e32 vcc_lo, 0xc2b17218, v12
	v_mul_f32_e32 v27, v22, v26
	v_div_scale_f32 v31, s1, 1.0, v13, 1.0
	v_div_fixup_f32 v25, v21, v16, 1.0
	v_cndmask_b32_e32 v12, 0x7f800000, v17, vcc_lo
	v_fma_f32 v17, -v30, v35, 1.0
	v_fma_f32 v21, -v32, v18, v28
	s_waitcnt vmcnt(8)
	v_mul_f32_e32 v28, 0xbfb8aa3b, v11
	v_fma_f32 v16, -v34, v27, v22
	v_add_f32_e32 v12, 1.0, v12
	v_fmac_f32_e32 v35, v17, v35
	s_mov_b32 vcc_lo, s0
	v_rndne_f32_e32 v17, v28
	v_fma_f32 v29, 0xbfb8aa3b, v11, -v28
	v_fmac_f32_e32 v27, v16, v26
	v_div_fmas_f32 v18, v21, v33, v18
	v_div_scale_f32 v16, null, v12, v12, 1.0
	v_sub_f32_e32 v28, v28, v17
	v_fmac_f32_e32 v29, 0xb2a5705f, v11
	v_fma_f32 v21, -v34, v27, v22
	v_mul_f32_e32 v22, v31, v35
	s_mov_b32 vcc_lo, s2
	v_rcp_f32_e32 v32, v16
	v_add_f32_e32 v28, v28, v29
	v_div_fmas_f32 v21, v21, v26, v27
	v_fma_f32 v29, -v30, v22, v31
	v_div_fixup_f32 v27, v18, v15, 1.0
	s_waitcnt vmcnt(7)
	v_mul_f32_e32 v15, 0xbfb8aa3b, v10
	v_exp_f32_e32 v28, v28
	v_div_fixup_f32 v26, v21, v14, 1.0
	v_cvt_i32_f32_e32 v14, v17
	v_fmac_f32_e32 v22, v29, v35
	v_cmp_nlt_f32_e32 vcc_lo, 0x42ce8ed0, v11
	v_fma_f32 v33, -v16, v32, 1.0
	v_rndne_f32_e32 v21, v15
	v_div_scale_f32 v17, s0, 1.0, v12, 1.0
	v_fma_f32 v18, -v30, v22, v31
	v_ldexp_f32 v14, v28, v14
	v_fma_f32 v28, 0xbfb8aa3b, v10, -v15
	v_fmac_f32_e32 v32, v33, v32
	v_sub_f32_e32 v15, v15, v21
	v_cvt_i32_f32_e32 v21, v21
	v_cndmask_b32_e32 v14, 0, v14, vcc_lo
	s_mov_b32 vcc_lo, s1
	v_fmac_f32_e32 v28, 0xb2a5705f, v10
	v_div_fmas_f32 v18, v18, v35, v22
	v_cmp_ngt_f32_e32 vcc_lo, 0xc2b17218, v11
	v_mul_f32_e32 v29, v17, v32
	v_cndmask_b32_e32 v11, 0x7f800000, v14, vcc_lo
	v_add_f32_e32 v14, v15, v28
	s_waitcnt vmcnt(6)
	v_mul_f32_e32 v15, 0xbfb8aa3b, v9
	v_fma_f32 v22, -v16, v29, v17
	v_div_fixup_f32 v28, v18, v13, 1.0
	v_cmp_nlt_f32_e32 vcc_lo, 0x42ce8ed0, v10
	v_exp_f32_e32 v13, v14
	v_rndne_f32_e32 v14, v15
	v_fma_f32 v18, 0xbfb8aa3b, v9, -v15
	v_fmac_f32_e32 v29, v22, v32
	s_waitcnt vmcnt(5)
	v_mul_f32_e32 v22, 0xbfb8aa3b, v8
	v_add_f32_e32 v11, 1.0, v11
	v_sub_f32_e32 v15, v15, v14
	v_fmac_f32_e32 v18, 0xb2a5705f, v9
	v_fma_f32 v16, -v16, v29, v17
	v_rndne_f32_e32 v31, v22
	v_fma_f32 v33, 0xbfb8aa3b, v8, -v22
	v_ldexp_f32 v13, v13, v21
	v_add_f32_e32 v15, v15, v18
	v_div_scale_f32 v30, null, v11, v11, 1.0
	v_sub_f32_e32 v18, v22, v31
	v_fmac_f32_e32 v33, 0xb2a5705f, v8
	v_cndmask_b32_e32 v13, 0, v13, vcc_lo
	v_exp_f32_e32 v15, v15
	v_cmp_ngt_f32_e32 vcc_lo, 0xc2b17218, v10
	v_rcp_f32_e32 v34, v30
	v_add_f32_e32 v17, v18, v33
	v_cndmask_b32_e32 v10, 0x7f800000, v13, vcc_lo
	v_cvt_i32_f32_e32 v13, v14
	s_mov_b32 vcc_lo, s0
	v_exp_f32_e32 v14, v17
	v_div_fmas_f32 v16, v16, v32, v29
	v_cmp_nlt_f32_e32 vcc_lo, 0x42ce8ed0, v9
	v_ldexp_f32 v13, v15, v13
	v_cvt_i32_f32_e32 v15, v31
	v_add_f32_e32 v10, 1.0, v10
	v_fma_f32 v18, -v30, v34, 1.0
	v_cmp_ngt_f32_e64 s0, 0xc2b17218, v8
	v_cndmask_b32_e32 v13, 0, v13, vcc_lo
	v_cmp_ngt_f32_e32 vcc_lo, 0xc2b17218, v9
	v_ldexp_f32 v14, v14, v15
	v_div_scale_f32 v15, null, v10, v10, 1.0
	v_fmac_f32_e32 v34, v18, v34
	v_cndmask_b32_e32 v9, 0x7f800000, v13, vcc_lo
	v_cmp_nlt_f32_e32 vcc_lo, 0x42ce8ed0, v8
	v_rcp_f32_e32 v17, v15
	s_waitcnt vmcnt(4)
	v_mul_f32_e32 v31, 0xbfb8aa3b, v7
	v_div_fixup_f32 v29, v16, v12, 1.0
	v_add_f32_e32 v9, 1.0, v9
	v_cndmask_b32_e32 v13, 0, v14, vcc_lo
	v_div_scale_f32 v14, vcc_lo, 1.0, v11, 1.0
	v_rndne_f32_e32 v33, v31
	v_fma_f32 v35, 0xbfb8aa3b, v7, -v31
	v_cndmask_b32_e64 v8, 0x7f800000, v13, s0
	v_mul_f32_e32 v13, v14, v34
	v_fma_f32 v16, -v15, v17, 1.0
	v_div_scale_f32 v18, null, v9, v9, 1.0
	v_add_f32_e32 v8, 1.0, v8
	v_fma_f32 v12, -v30, v13, v14
	v_sub_f32_e32 v31, v31, v33
	v_fmac_f32_e32 v35, 0xb2a5705f, v7
	v_fmac_f32_e32 v17, v16, v17
	v_div_scale_f32 v22, null, v8, v8, 1.0
	v_div_scale_f32 v16, s0, 1.0, v10, 1.0
	v_rcp_f32_e32 v21, v18
	v_fmac_f32_e32 v13, v12, v34
	v_add_f32_e32 v31, v31, v35
	v_rcp_f32_e32 v32, v22
	v_mul_f32_e32 v12, v16, v17
	v_fma_f32 v14, -v30, v13, v14
	v_exp_f32_e32 v31, v31
	v_fma_f32 v30, -v15, v12, v16
	v_fma_f32 v36, -v18, v21, 1.0
	v_div_fmas_f32 v13, v14, v34, v13
	v_cvt_i32_f32_e32 v14, v33
	v_fma_f32 v37, -v22, v32, 1.0
	v_fmac_f32_e32 v12, v30, v17
	v_fmac_f32_e32 v21, v36, v21
	v_div_scale_f32 v36, s1, 1.0, v9, 1.0
	v_div_fixup_f32 v30, v13, v11, 1.0
	v_ldexp_f32 v11, v31, v14
	v_cmp_nlt_f32_e32 vcc_lo, 0x42ce8ed0, v7
	v_fmac_f32_e32 v32, v37, v32
	v_div_scale_f32 v37, s2, 1.0, v8, 1.0
	v_fma_f32 v13, -v15, v12, v16
	v_mul_f32_e32 v35, v36, v21
	v_cndmask_b32_e32 v11, 0, v11, vcc_lo
	s_mov_b32 vcc_lo, s0
	v_mul_f32_e32 v34, v37, v32
	v_div_fmas_f32 v12, v13, v17, v12
	v_cmp_ngt_f32_e32 vcc_lo, 0xc2b17218, v7
	v_fma_f32 v33, -v18, v35, v36
	v_fma_f32 v14, -v22, v34, v37
	v_cndmask_b32_e32 v7, 0x7f800000, v11, vcc_lo
	s_waitcnt vmcnt(3)
	v_mul_f32_e32 v11, 0xbfb8aa3b, v6
	v_fmac_f32_e32 v35, v33, v21
	v_fmac_f32_e32 v34, v14, v32
	s_mov_b32 vcc_lo, s1
	v_add_f32_e32 v7, 1.0, v7
	v_rndne_f32_e32 v14, v11
	v_fma_f32 v15, 0xbfb8aa3b, v6, -v11
	v_fma_f32 v13, -v18, v35, v36
	v_fma_f32 v16, -v22, v34, v37
	v_div_fixup_f32 v33, v12, v10, 1.0
	v_sub_f32_e32 v11, v11, v14
	v_fmac_f32_e32 v15, 0xb2a5705f, v6
	v_div_fmas_f32 v13, v13, v21, v35
	s_mov_b32 vcc_lo, s2
	v_div_scale_f32 v17, null, v7, v7, 1.0
	v_div_fmas_f32 v16, v16, v32, v34
	v_add_f32_e32 v11, v11, v15
	s_waitcnt vmcnt(2)
	v_mul_f32_e32 v15, 0xbfb8aa3b, v5
	v_div_fixup_f32 v32, v13, v9, 1.0
	v_cvt_i32_f32_e32 v13, v14
	v_div_fixup_f32 v31, v16, v8, 1.0
	v_exp_f32_e32 v8, v11
	v_rndne_f32_e32 v9, v15
	v_fma_f32 v10, 0xbfb8aa3b, v5, -v15
	s_waitcnt vmcnt(1)
	v_mul_f32_e32 v11, 0xbfb8aa3b, v4
	v_rcp_f32_e32 v18, v17
	v_cmp_nlt_f32_e32 vcc_lo, 0x42ce8ed0, v6
	v_sub_f32_e32 v14, v15, v9
	v_fmac_f32_e32 v10, 0xb2a5705f, v5
	v_rndne_f32_e32 v15, v11
	v_fma_f32 v16, 0xbfb8aa3b, v4, -v11
	v_ldexp_f32 v8, v8, v13
	s_waitcnt vmcnt(0)
	v_mul_f32_e32 v21, 0xbfb8aa3b, v3
	v_add_f32_e32 v10, v14, v10
	v_sub_f32_e32 v11, v11, v15
	v_fmac_f32_e32 v16, 0xb2a5705f, v4
	v_cndmask_b32_e32 v8, 0, v8, vcc_lo
	v_cmp_ngt_f32_e32 vcc_lo, 0xc2b17218, v6
	v_exp_f32_e32 v10, v10
	v_fma_f32 v12, -v17, v18, 1.0
	v_add_f32_e32 v11, v11, v16
	v_rndne_f32_e32 v13, v21
	v_fma_f32 v14, 0xbfb8aa3b, v3, -v21
	v_cndmask_b32_e32 v6, 0x7f800000, v8, vcc_lo
	v_cvt_i32_f32_e32 v9, v9
	v_exp_f32_e32 v8, v11
	v_sub_f32_e32 v16, v21, v13
	v_fmac_f32_e32 v14, 0xb2a5705f, v3
	v_fmac_f32_e32 v18, v12, v18
	v_cvt_i32_f32_e32 v12, v15
	v_ldexp_f32 v9, v10, v9
	v_cmp_nlt_f32_e32 vcc_lo, 0x42ce8ed0, v5
	v_add_f32_e32 v11, v16, v14
	v_add_f32_e32 v6, 1.0, v6
	v_ldexp_f32 v8, v8, v12
	v_cndmask_b32_e32 v9, 0, v9, vcc_lo
	v_cmp_nlt_f32_e32 vcc_lo, 0x42ce8ed0, v4
	v_exp_f32_e32 v10, v11
	v_cvt_i32_f32_e32 v12, v13
	v_div_scale_f32 v11, null, v6, v6, 1.0
	v_cndmask_b32_e32 v8, 0, v8, vcc_lo
	v_cmp_ngt_f32_e32 vcc_lo, 0xc2b17218, v5
	v_cndmask_b32_e32 v5, 0x7f800000, v9, vcc_lo
	v_cmp_ngt_f32_e32 vcc_lo, 0xc2b17218, v4
	v_ldexp_f32 v9, v10, v12
	v_add_f32_e32 v5, 1.0, v5
	v_cndmask_b32_e32 v4, 0x7f800000, v8, vcc_lo
	v_cmp_nlt_f32_e32 vcc_lo, 0x42ce8ed0, v3
	v_rcp_f32_e32 v8, v11
	v_div_scale_f32 v10, null, v5, v5, 1.0
	v_cndmask_b32_e32 v9, 0, v9, vcc_lo
	v_cmp_ngt_f32_e32 vcc_lo, 0xc2b17218, v3
	v_add_f32_e32 v4, 1.0, v4
	v_rcp_f32_e32 v13, v10
	v_cndmask_b32_e32 v3, 0x7f800000, v9, vcc_lo
	v_div_scale_f32 v9, null, v4, v4, 1.0
	v_div_scale_f32 v12, vcc_lo, 1.0, v7, 1.0
	v_add_f32_e32 v3, 1.0, v3
	v_rcp_f32_e32 v15, v9
	v_fma_f32 v14, -v11, v8, 1.0
	v_mul_f32_e32 v16, v12, v18
	v_fma_f32 v22, -v10, v13, 1.0
	v_div_scale_f32 v21, null, v3, v3, 1.0
	v_fmac_f32_e32 v8, v14, v8
	v_div_scale_f32 v14, s0, 1.0, v6, 1.0
	v_rcp_f32_e32 v34, v21
	v_fma_f32 v36, -v9, v15, 1.0
	v_fma_f32 v35, -v17, v16, v12
	v_mul_f32_e32 v37, v14, v8
	v_fmac_f32_e32 v13, v22, v13
	v_div_scale_f32 v22, s1, 1.0, v5, 1.0
	v_fmac_f32_e32 v15, v36, v15
	v_div_scale_f32 v36, s2, 1.0, v4, 1.0
	v_fma_f32 v38, -v21, v34, 1.0
	v_fmac_f32_e32 v16, v35, v18
	v_fma_f32 v35, -v11, v37, v14
	v_mul_f32_e32 v39, v22, v13
	v_mul_f32_e32 v40, v36, v15
	v_fmac_f32_e32 v34, v38, v34
	v_div_scale_f32 v38, s3, 1.0, v3, 1.0
	v_fmac_f32_e32 v37, v35, v8
	v_fma_f32 v12, -v17, v16, v12
	v_fma_f32 v17, -v10, v39, v22
	v_mul_f32_e32 v41, v38, v34
	v_fma_f32 v35, -v9, v40, v36
	v_fma_f32 v11, -v11, v37, v14
	v_div_fmas_f32 v12, v12, v18, v16
	v_fmac_f32_e32 v39, v17, v13
	v_fma_f32 v14, -v21, v41, v38
	v_fmac_f32_e32 v40, v35, v15
	s_mov_b32 vcc_lo, s0
	v_fma_f32 v10, -v10, v39, v22
	v_fmac_f32_e32 v41, v14, v34
	v_fma_f32 v9, -v9, v40, v36
	v_div_fmas_f32 v8, v11, v8, v37
	s_mov_b32 vcc_lo, s1
	v_fma_f32 v11, -v21, v41, v38
	v_div_fmas_f32 v10, v10, v13, v39
	s_mov_b32 vcc_lo, s2
	v_div_fixup_f32 v38, v12, v7, 1.0
	v_div_fmas_f32 v9, v9, v15, v40
	s_mov_b32 vcc_lo, s3
	v_div_fixup_f32 v37, v8, v6, 1.0
	v_div_fmas_f32 v11, v11, v34, v41
	v_div_fixup_f32 v36, v10, v5, 1.0
	v_div_fixup_f32 v35, v9, v4, 1.0
	;; [unrolled: 1-line block ×3, first 2 shown]
.LBB21_6:
	s_waitcnt vmcnt(17)
	v_mov_b32_e32 v22, v19
	s_waitcnt vmcnt(16)
	v_mov_b32_e32 v21, v20
	;; [unrolled: 2-line block ×18, first 2 shown]
.LBB21_7:
	v_or_b32_e32 v69, 0x200, v0
	v_add_nc_u32_e32 v68, 0x220, v0
	s_lshr_b32 s0, s4, 8
	s_cmp_gt_i32 s21, 0
	s_cbranch_scc1 .LBB21_9
; %bb.8:
	s_bitcmp1_b32 s0, 0
	s_mov_b32 s1, 0
	s_cselect_b32 s2, -1, 0
	s_branch .LBB21_10
.LBB21_9:
	s_mov_b32 s1, -1
                                        ; implicit-def: $sgpr2
.LBB21_10:
	v_add_nc_u32_e32 v84, 32, v0
	v_add_nc_u32_e32 v83, 64, v0
	v_add_nc_u32_e32 v82, 0x60, v0
	v_or_b32_e32 v81, 0x80, v0
	v_add_nc_u32_e32 v80, 0xa0, v0
	v_add_nc_u32_e32 v79, 0xc0, v0
	v_add_nc_u32_e32 v78, 0xe0, v0
	v_or_b32_e32 v77, 0x100, v0
	;; [unrolled: 4-line block ×3, first 2 shown]
	v_add_nc_u32_e32 v72, 0x1a0, v0
	v_add_nc_u32_e32 v71, 0x1c0, v0
	;; [unrolled: 1-line block ×3, first 2 shown]
	v_mbcnt_lo_u32_b32 v85, -1, 0
	s_andn2_b32 vcc_lo, exec_lo, s1
	s_mov_b32 s1, 0
	s_cbranch_vccnz .LBB21_37
; %bb.11:
	v_add_co_u32 v19, vcc_lo, s6, v1
	v_add_co_ci_u32_e64 v20, null, s7, v2, vcc_lo
	s_waitcnt vmcnt(17)
	v_cmp_o_f32_e32 vcc_lo, v22, v22
	v_xor_b32_e32 v1, 16, v85
	v_xor_b32_e32 v2, 8, v85
	v_mov_b32_e32 v33, 0
	s_bitcmp1_b32 s0, 0
	v_cndmask_b32_e32 v22, 0xff7fffff, v22, vcc_lo
	s_waitcnt vmcnt(16)
	v_cmp_o_f32_e32 vcc_lo, v21, v21
	s_cselect_b32 s2, -1, 0
	v_cndmask_b32_e32 v21, 0xff7fffff, v21, vcc_lo
	s_waitcnt vmcnt(15)
	v_cmp_o_f32_e32 vcc_lo, v18, v18
	v_cndmask_b32_e32 v23, 0xff7fffff, v18, vcc_lo
	s_waitcnt vmcnt(14)
	v_cmp_o_f32_e32 vcc_lo, v17, v17
	v_mov_b32_e32 v18, v33
	v_cndmask_b32_e32 v24, 0xff7fffff, v17, vcc_lo
	s_waitcnt vmcnt(13)
	v_cmp_o_f32_e32 vcc_lo, v16, v16
	v_mov_b32_e32 v17, v33
	;; [unrolled: 4-line block ×13, first 2 shown]
	v_cndmask_b32_e32 v89, 0xff7fffff, v5, vcc_lo
	v_cmp_gt_i32_e32 vcc_lo, 32, v1
	v_mov_b32_e32 v5, v33
	v_cndmask_b32_e32 v1, v85, v1, vcc_lo
	s_waitcnt vmcnt(1)
	v_cmp_o_f32_e32 vcc_lo, v4, v4
	v_lshlrev_b32_e32 v92, 2, v1
	v_cndmask_b32_e32 v90, 0xff7fffff, v4, vcc_lo
	s_waitcnt vmcnt(0)
	v_cmp_o_f32_e32 vcc_lo, v3, v3
	v_xor_b32_e32 v1, 4, v85
	v_xor_b32_e32 v4, 1, v85
	v_cndmask_b32_e32 v91, 0xff7fffff, v3, vcc_lo
	v_cmp_gt_i32_e32 vcc_lo, 32, v2
	v_xor_b32_e32 v3, 2, v85
	v_cndmask_b32_e32 v2, v85, v2, vcc_lo
	v_cmp_gt_i32_e32 vcc_lo, 32, v1
	v_lshlrev_b32_e32 v93, 2, v2
	v_cndmask_b32_e32 v1, v85, v1, vcc_lo
	v_cmp_gt_i32_e32 vcc_lo, 32, v3
	v_mov_b32_e32 v2, v33
	v_lshlrev_b32_e32 v94, 2, v1
	v_cndmask_b32_e32 v3, v85, v3, vcc_lo
	v_cmp_gt_i32_e32 vcc_lo, 32, v4
	v_mov_b32_e32 v1, 0
	v_lshlrev_b32_e32 v95, 2, v3
	v_cndmask_b32_e32 v4, v85, v4, vcc_lo
	v_mov_b32_e32 v3, v33
	v_lshlrev_b32_e32 v96, 2, v4
	v_mov_b32_e32 v4, v33
	s_branch .LBB21_13
.LBB21_12:                              ;   in Loop: Header=BB21_13 Depth=1
	s_or_b32 exec_lo, exec_lo, s0
	s_and_b32 s0, s1, 31
	s_waitcnt lgkmcnt(0)
	v_mov_b32_e32 v65, v32
	v_mov_b32_e32 v34, v1
	v_cmp_eq_u32_e32 vcc_lo, s0, v0
	s_lshr_b32 m0, s1, 5
	v_mov_b32_e32 v64, v31
	v_mov_b32_e32 v63, v30
	;; [unrolled: 1-line block ×30, first 2 shown]
	v_movreld_b32_e32 v34, v97
	v_cndmask_b32_e32 v18, v18, v51, vcc_lo
	v_cndmask_b32_e32 v17, v17, v50, vcc_lo
	;; [unrolled: 1-line block ×18, first 2 shown]
	v_add_co_u32 v19, vcc_lo, v19, 4
	v_add_co_ci_u32_e64 v20, null, 0, v20, vcc_lo
	s_add_i32 s1, s1, 1
	s_cmp_eq_u32 s21, s1
	s_cbranch_scc1 .LBB21_38
.LBB21_13:                              ; =>This Inner Loop Header: Depth=1
	v_cmp_gt_f32_e32 vcc_lo, v21, v22
	s_mov_b32 s4, exec_lo
	v_cndmask_b32_e32 v34, v22, v21, vcc_lo
	v_cndmask_b32_e32 v35, v0, v84, vcc_lo
	v_cmp_gt_f32_e64 s0, v23, v34
	v_cndmask_b32_e64 v34, v34, v23, s0
	v_cndmask_b32_e64 v35, v35, v83, s0
	v_cmp_gt_f32_e32 vcc_lo, v24, v34
	v_cndmask_b32_e32 v34, v34, v24, vcc_lo
	v_cndmask_b32_e32 v35, v35, v82, vcc_lo
	v_cmp_gt_f32_e64 s0, v25, v34
	v_cndmask_b32_e64 v34, v34, v25, s0
	v_cndmask_b32_e64 v35, v35, v81, s0
	v_cmp_gt_f32_e32 vcc_lo, v26, v34
	v_cndmask_b32_e32 v34, v34, v26, vcc_lo
	v_cndmask_b32_e32 v35, v35, v80, vcc_lo
	v_cmp_gt_f32_e64 s0, v27, v34
	v_cndmask_b32_e64 v34, v34, v27, s0
	v_cndmask_b32_e64 v35, v35, v79, s0
	v_cmp_gt_f32_e32 vcc_lo, v28, v34
	v_cndmask_b32_e32 v34, v34, v28, vcc_lo
	v_cndmask_b32_e32 v35, v35, v78, vcc_lo
	v_cmp_gt_f32_e64 s0, v29, v34
	v_cndmask_b32_e64 v34, v34, v29, s0
	v_cndmask_b32_e64 v35, v35, v77, s0
	v_cmp_gt_f32_e32 vcc_lo, v30, v34
	v_cndmask_b32_e32 v34, v34, v30, vcc_lo
	v_cndmask_b32_e32 v35, v35, v76, vcc_lo
	v_cmp_gt_f32_e64 s0, v31, v34
	v_cndmask_b32_e64 v34, v34, v31, s0
	v_cndmask_b32_e64 v35, v35, v75, s0
	v_cmp_gt_f32_e32 vcc_lo, v32, v34
	v_cndmask_b32_e32 v34, v34, v32, vcc_lo
	v_cndmask_b32_e32 v35, v35, v74, vcc_lo
	v_cmp_gt_f32_e64 s0, v86, v34
	v_cndmask_b32_e64 v34, v34, v86, s0
	v_cndmask_b32_e64 v35, v35, v73, s0
	v_cmp_gt_f32_e32 vcc_lo, v87, v34
	v_cndmask_b32_e32 v34, v34, v87, vcc_lo
	v_cndmask_b32_e32 v35, v35, v72, vcc_lo
	v_cmp_gt_f32_e64 s0, v88, v34
	v_cndmask_b32_e64 v34, v34, v88, s0
	v_cndmask_b32_e64 v35, v35, v71, s0
	v_cmp_gt_f32_e32 vcc_lo, v89, v34
	v_cndmask_b32_e32 v34, v34, v89, vcc_lo
	v_cndmask_b32_e32 v35, v35, v70, vcc_lo
	v_cmp_gt_f32_e64 s0, v90, v34
	v_cndmask_b32_e64 v34, v34, v90, s0
	v_cmp_gt_f32_e32 vcc_lo, v91, v34
	v_cndmask_b32_e32 v97, v34, v91, vcc_lo
	v_cndmask_b32_e64 v34, v35, v69, s0
	ds_bpermute_b32 v35, v92, v97
	v_cndmask_b32_e32 v34, v34, v68, vcc_lo
	ds_bpermute_b32 v36, v92, v34
	s_waitcnt lgkmcnt(1)
	v_cmp_lt_f32_e64 s3, v97, v35
	v_cmpx_nlt_f32_e32 v97, v35
	s_cbranch_execz .LBB21_15
; %bb.14:                               ;   in Loop: Header=BB21_13 Depth=1
	v_cmp_eq_f32_e32 vcc_lo, v97, v35
	s_waitcnt lgkmcnt(0)
	v_cmp_lt_i32_e64 s0, v36, v34
	s_andn2_b32 s3, s3, exec_lo
	s_and_b32 s0, vcc_lo, s0
	s_and_b32 s0, s0, exec_lo
	s_or_b32 s3, s3, s0
.LBB21_15:                              ;   in Loop: Header=BB21_13 Depth=1
	s_or_b32 exec_lo, exec_lo, s4
	s_and_saveexec_b32 s0, s3
	s_cbranch_execz .LBB21_17
; %bb.16:                               ;   in Loop: Header=BB21_13 Depth=1
	v_mov_b32_e32 v97, v35
	s_waitcnt lgkmcnt(0)
	v_mov_b32_e32 v34, v36
.LBB21_17:                              ;   in Loop: Header=BB21_13 Depth=1
	s_or_b32 exec_lo, exec_lo, s0
	s_waitcnt lgkmcnt(0)
	ds_bpermute_b32 v36, v93, v97
	ds_bpermute_b32 v35, v93, v34
	s_mov_b32 s4, exec_lo
	s_waitcnt lgkmcnt(1)
	v_cmp_lt_f32_e64 s3, v97, v36
	v_cmpx_nlt_f32_e32 v97, v36
	s_cbranch_execz .LBB21_19
; %bb.18:                               ;   in Loop: Header=BB21_13 Depth=1
	v_cmp_eq_f32_e32 vcc_lo, v97, v36
	s_waitcnt lgkmcnt(0)
	v_cmp_lt_i32_e64 s0, v35, v34
	s_andn2_b32 s3, s3, exec_lo
	s_and_b32 s0, vcc_lo, s0
	s_and_b32 s0, s0, exec_lo
	s_or_b32 s3, s3, s0
.LBB21_19:                              ;   in Loop: Header=BB21_13 Depth=1
	s_or_b32 exec_lo, exec_lo, s4
	s_and_saveexec_b32 s0, s3
	s_cbranch_execz .LBB21_21
; %bb.20:                               ;   in Loop: Header=BB21_13 Depth=1
	v_mov_b32_e32 v97, v36
	s_waitcnt lgkmcnt(0)
	v_mov_b32_e32 v34, v35
.LBB21_21:                              ;   in Loop: Header=BB21_13 Depth=1
	s_or_b32 exec_lo, exec_lo, s0
	ds_bpermute_b32 v36, v94, v97
	s_waitcnt lgkmcnt(1)
	ds_bpermute_b32 v35, v94, v34
	s_mov_b32 s4, exec_lo
	s_waitcnt lgkmcnt(1)
	v_cmp_lt_f32_e64 s3, v97, v36
	v_cmpx_nlt_f32_e32 v97, v36
	s_cbranch_execz .LBB21_23
; %bb.22:                               ;   in Loop: Header=BB21_13 Depth=1
	v_cmp_eq_f32_e32 vcc_lo, v97, v36
	s_waitcnt lgkmcnt(0)
	v_cmp_lt_i32_e64 s0, v35, v34
	s_andn2_b32 s3, s3, exec_lo
	s_and_b32 s0, vcc_lo, s0
	s_and_b32 s0, s0, exec_lo
	s_or_b32 s3, s3, s0
.LBB21_23:                              ;   in Loop: Header=BB21_13 Depth=1
	s_or_b32 exec_lo, exec_lo, s4
	s_and_saveexec_b32 s0, s3
	s_cbranch_execz .LBB21_25
; %bb.24:                               ;   in Loop: Header=BB21_13 Depth=1
	v_mov_b32_e32 v97, v36
	s_waitcnt lgkmcnt(0)
	v_mov_b32_e32 v34, v35
.LBB21_25:                              ;   in Loop: Header=BB21_13 Depth=1
	s_or_b32 exec_lo, exec_lo, s0
	ds_bpermute_b32 v36, v95, v97
	s_waitcnt lgkmcnt(1)
	ds_bpermute_b32 v35, v95, v34
	s_mov_b32 s4, exec_lo
	s_waitcnt lgkmcnt(1)
	v_cmp_lt_f32_e64 s3, v97, v36
	v_cmpx_nlt_f32_e32 v97, v36
	s_cbranch_execz .LBB21_27
; %bb.26:                               ;   in Loop: Header=BB21_13 Depth=1
	v_cmp_eq_f32_e32 vcc_lo, v97, v36
	s_waitcnt lgkmcnt(0)
	v_cmp_lt_i32_e64 s0, v35, v34
	s_andn2_b32 s3, s3, exec_lo
	s_and_b32 s0, vcc_lo, s0
	s_and_b32 s0, s0, exec_lo
	s_or_b32 s3, s3, s0
.LBB21_27:                              ;   in Loop: Header=BB21_13 Depth=1
	s_or_b32 exec_lo, exec_lo, s4
	s_and_saveexec_b32 s0, s3
	s_cbranch_execz .LBB21_29
; %bb.28:                               ;   in Loop: Header=BB21_13 Depth=1
	v_mov_b32_e32 v97, v36
	s_waitcnt lgkmcnt(0)
	v_mov_b32_e32 v34, v35
.LBB21_29:                              ;   in Loop: Header=BB21_13 Depth=1
	s_or_b32 exec_lo, exec_lo, s0
	s_waitcnt lgkmcnt(0)
	ds_bpermute_b32 v35, v96, v97
	ds_bpermute_b32 v36, v96, v34
	s_mov_b32 s4, exec_lo
	s_waitcnt lgkmcnt(1)
	v_cmp_lt_f32_e64 s3, v97, v35
	v_cmpx_nlt_f32_e32 v97, v35
	s_cbranch_execz .LBB21_31
; %bb.30:                               ;   in Loop: Header=BB21_13 Depth=1
	v_cmp_eq_f32_e32 vcc_lo, v97, v35
	s_waitcnt lgkmcnt(0)
	v_cmp_lt_i32_e64 s0, v36, v34
	s_andn2_b32 s3, s3, exec_lo
	s_and_b32 s0, vcc_lo, s0
	s_and_b32 s0, s0, exec_lo
	s_or_b32 s3, s3, s0
.LBB21_31:                              ;   in Loop: Header=BB21_13 Depth=1
	s_or_b32 exec_lo, exec_lo, s4
	s_and_saveexec_b32 s0, s3
	s_cbranch_execz .LBB21_33
; %bb.32:                               ;   in Loop: Header=BB21_13 Depth=1
	v_mov_b32_e32 v97, v35
	s_waitcnt lgkmcnt(0)
	v_mov_b32_e32 v34, v36
.LBB21_33:                              ;   in Loop: Header=BB21_13 Depth=1
	s_or_b32 exec_lo, exec_lo, s0
	v_and_b32_e32 v35, 31, v34
	v_cmp_eq_u32_e32 vcc_lo, v35, v0
	s_and_saveexec_b32 s3, vcc_lo
	s_cbranch_execz .LBB21_35
; %bb.34:                               ;   in Loop: Header=BB21_13 Depth=1
	v_ashrrev_i32_e32 v35, 31, v34
	v_lshrrev_b32_e32 v35, 27, v35
	v_add_nc_u32_e32 v35, v34, v35
	v_ashrrev_i32_e32 v35, 5, v35
	v_cmp_ne_u32_e64 s0, 17, v35
	v_cndmask_b32_e64 v91, 0xff800000, v91, s0
	v_cmp_ne_u32_e64 s0, 16, v35
	v_cndmask_b32_e64 v90, 0xff800000, v90, s0
	;; [unrolled: 2-line block ×18, first 2 shown]
.LBB21_35:                              ;   in Loop: Header=BB21_13 Depth=1
	s_or_b32 exec_lo, exec_lo, s3
	s_and_saveexec_b32 s0, vcc_lo
	s_cbranch_execz .LBB21_12
; %bb.36:                               ;   in Loop: Header=BB21_13 Depth=1
	v_add_f32_e32 v35, v33, v97
	global_store_dword v[19:20], v34, off
	v_cndmask_b32_e64 v33, v33, v35, s2
	s_branch .LBB21_12
.LBB21_37:
	v_mov_b32_e32 v33, 0
	v_mov_b32_e32 v34, v33
	;; [unrolled: 1-line block ×18, first 2 shown]
	s_waitcnt vmcnt(0)
	v_mov_b32_e32 v1, v33
	v_mov_b32_e32 v2, v34
	;; [unrolled: 1-line block ×32, first 2 shown]
.LBB21_38:
	s_and_b32 vcc_lo, exec_lo, s2
	s_cbranch_vccz .LBB21_40
; %bb.39:
	v_xor_b32_e32 v19, 16, v85
	v_xor_b32_e32 v20, 8, v85
	;; [unrolled: 1-line block ×3, first 2 shown]
	v_cmp_gt_i32_e32 vcc_lo, 32, v19
	v_cndmask_b32_e32 v19, v85, v19, vcc_lo
	v_cmp_gt_i32_e32 vcc_lo, 32, v20
	v_lshlrev_b32_e32 v19, 2, v19
	v_cndmask_b32_e32 v20, v85, v20, vcc_lo
	v_cmp_gt_i32_e32 vcc_lo, 32, v21
	ds_bpermute_b32 v19, v19, v33
	v_lshlrev_b32_e32 v20, 2, v20
	v_cndmask_b32_e32 v21, v85, v21, vcc_lo
	v_lshlrev_b32_e32 v21, 2, v21
	s_waitcnt lgkmcnt(0)
	v_add_f32_e32 v19, v33, v19
	ds_bpermute_b32 v20, v20, v19
	s_waitcnt lgkmcnt(0)
	v_add_f32_e32 v19, v19, v20
	ds_bpermute_b32 v20, v21, v19
	v_xor_b32_e32 v21, 2, v85
	v_cmp_gt_i32_e32 vcc_lo, 32, v21
	v_cndmask_b32_e32 v21, v85, v21, vcc_lo
	v_lshlrev_b32_e32 v21, 2, v21
	s_waitcnt lgkmcnt(0)
	v_add_f32_e32 v19, v19, v20
	ds_bpermute_b32 v20, v21, v19
	v_xor_b32_e32 v21, 1, v85
	v_cmp_gt_i32_e32 vcc_lo, 32, v21
	v_cndmask_b32_e32 v21, v85, v21, vcc_lo
	v_lshlrev_b32_e32 v21, 2, v21
	s_waitcnt lgkmcnt(0)
	v_add_f32_e32 v19, v19, v20
	ds_bpermute_b32 v20, v21, v19
	v_max_f32_e64 v21, s22, s22
	s_waitcnt lgkmcnt(0)
	v_add_f32_e32 v19, v19, v20
	v_max_f32_e32 v19, v19, v21
	v_div_scale_f32 v20, null, v19, v19, 1.0
	v_div_scale_f32 v23, vcc_lo, 1.0, v19, 1.0
	v_rcp_f32_e32 v21, v20
	v_fma_f32 v22, -v20, v21, 1.0
	v_fmac_f32_e32 v21, v22, v21
	v_mul_f32_e32 v22, v23, v21
	v_fma_f32 v24, -v20, v22, v23
	v_fmac_f32_e32 v22, v24, v21
	v_fma_f32 v20, -v20, v22, v23
	v_div_fmas_f32 v20, v20, v21, v22
	v_div_fixup_f32 v19, v20, v19, 1.0
	v_mul_f32_e32 v1, v19, v1
	v_mul_f32_e32 v2, v19, v2
	;; [unrolled: 1-line block ×18, first 2 shown]
.LBB21_40:
	v_cmp_gt_i32_e64 s0, s21, v84
	v_cmp_gt_i32_e64 s1, s21, v83
	;; [unrolled: 1-line block ×18, first 2 shown]
	s_andn2_b32 vcc_lo, exec_lo, s20
	s_cbranch_vccnz .LBB21_42
; %bb.41:
	v_max_f32_e32 v19, v1, v1
	v_max_f32_e32 v20, v2, v2
	;; [unrolled: 1-line block ×4, first 2 shown]
	v_cndmask_b32_e64 v19, 0xff800000, v19, s17
	v_max_f32_e32 v20, v19, v20
	v_cndmask_b32_e64 v19, v19, v20, s0
	v_max_f32_e32 v20, v19, v21
	v_max_f32_e32 v21, v4, v4
	v_cndmask_b32_e64 v19, v19, v20, s1
	v_max_f32_e32 v20, v19, v21
	;; [unrolled: 3-line block ×3, first 2 shown]
	v_cndmask_b32_e64 v19, v19, v20, s3
	v_max_f32_e32 v20, v6, v6
	v_max_f32_e32 v21, v19, v19
	v_max_f32_e32 v20, v21, v20
	v_cndmask_b32_e64 v19, v19, v20, s4
	v_max_f32_e32 v20, v7, v7
	v_max_f32_e32 v21, v19, v19
	v_max_f32_e32 v20, v21, v20
	;; [unrolled: 4-line block ×12, first 2 shown]
	v_max_f32_e32 v21, v18, v18
	v_cndmask_b32_e64 v20, v19, v20, s15
	v_xor_b32_e32 v19, 16, v85
	v_max_f32_e32 v22, v20, v20
	v_cmp_gt_i32_e32 vcc_lo, 32, v19
	v_max_f32_e32 v21, v22, v21
	v_cndmask_b32_e32 v19, v85, v19, vcc_lo
	v_xor_b32_e32 v22, 8, v85
	v_cndmask_b32_e64 v20, v20, v21, s16
	v_lshlrev_b32_e32 v19, 2, v19
	v_cmp_gt_i32_e32 vcc_lo, 32, v22
	v_max_f32_e32 v23, v20, v20
	ds_bpermute_b32 v21, v19, v20
	v_cndmask_b32_e32 v22, v85, v22, vcc_lo
	v_lshlrev_b32_e32 v20, 2, v22
	s_waitcnt lgkmcnt(0)
	v_max_f32_e32 v21, v21, v21
	v_max_f32_e32 v22, v23, v21
	v_xor_b32_e32 v23, 4, v85
	ds_bpermute_b32 v21, v20, v22
	v_cmp_gt_i32_e32 vcc_lo, 32, v23
	v_cndmask_b32_e32 v23, v85, v23, vcc_lo
	s_waitcnt lgkmcnt(0)
	v_max_f32_e32 v24, v21, v21
	v_lshlrev_b32_e32 v21, 2, v23
	v_max_f32_e32 v23, v22, v24
	v_xor_b32_e32 v24, 2, v85
	ds_bpermute_b32 v22, v21, v23
	v_cmp_gt_i32_e32 vcc_lo, 32, v24
	v_cndmask_b32_e32 v24, v85, v24, vcc_lo
	s_waitcnt lgkmcnt(0)
	v_max_f32_e32 v25, v22, v22
	v_lshlrev_b32_e32 v22, 2, v24
	;; [unrolled: 8-line block ×3, first 2 shown]
	v_max_f32_e32 v24, v24, v26
	ds_bpermute_b32 v25, v23, v24
	s_waitcnt lgkmcnt(0)
	v_max_f32_e32 v25, v25, v25
	v_max_f32_e32 v24, v24, v25
	v_sub_f32_e32 v1, v1, v24
	v_sub_f32_e32 v2, v2, v24
	;; [unrolled: 1-line block ×18, first 2 shown]
	v_mul_f32_e32 v24, 0x3fb8aa3b, v1
	v_mul_f32_e32 v25, 0x3fb8aa3b, v2
	;; [unrolled: 1-line block ×4, first 2 shown]
	v_cmp_ngt_f32_e32 vcc_lo, 0xc2ce8ed0, v1
	v_fma_f32 v42, 0x3fb8aa3b, v1, -v24
	v_rndne_f32_e32 v43, v24
	v_fma_f32 v44, 0x3fb8aa3b, v2, -v25
	v_rndne_f32_e32 v45, v25
	v_fma_f32 v46, 0x3fb8aa3b, v3, -v26
	v_fmac_f32_e32 v42, 0x32a5705f, v1
	v_sub_f32_e32 v24, v24, v43
	v_fmac_f32_e32 v44, 0x32a5705f, v2
	v_sub_f32_e32 v25, v25, v45
	v_rndne_f32_e32 v47, v26
	v_cvt_i32_f32_e32 v43, v43
	v_add_f32_e32 v24, v24, v42
	v_cvt_i32_f32_e32 v45, v45
	v_add_f32_e32 v25, v25, v44
	v_fmac_f32_e32 v46, 0x32a5705f, v3
	v_sub_f32_e32 v26, v26, v47
	v_exp_f32_e32 v24, v24
	v_fma_f32 v48, 0x3fb8aa3b, v4, -v27
	v_exp_f32_e32 v25, v25
	v_rndne_f32_e32 v49, v27
	v_add_f32_e32 v26, v26, v46
	v_mul_f32_e32 v28, 0x3fb8aa3b, v5
	v_fmac_f32_e32 v48, 0x32a5705f, v4
	v_cvt_i32_f32_e32 v47, v47
	v_sub_f32_e32 v27, v27, v49
	v_exp_f32_e32 v26, v26
	v_ldexp_f32 v24, v24, v43
	v_fma_f32 v50, 0x3fb8aa3b, v5, -v28
	v_ldexp_f32 v25, v25, v45
	v_rndne_f32_e32 v51, v28
	v_add_f32_e32 v27, v27, v48
	v_cndmask_b32_e32 v24, 0, v24, vcc_lo
	v_cmp_ngt_f32_e32 vcc_lo, 0xc2ce8ed0, v2
	v_mul_f32_e32 v29, 0x3fb8aa3b, v6
	v_fmac_f32_e32 v50, 0x32a5705f, v5
	v_sub_f32_e32 v28, v28, v51
	v_ldexp_f32 v26, v26, v47
	v_cndmask_b32_e32 v25, 0, v25, vcc_lo
	v_cmp_nlt_f32_e32 vcc_lo, 0x42b17218, v1
	v_fma_f32 v52, 0x3fb8aa3b, v6, -v29
	v_rndne_f32_e32 v53, v29
	v_cvt_i32_f32_e32 v49, v49
	v_mul_f32_e32 v30, 0x3fb8aa3b, v7
	v_cndmask_b32_e32 v1, 0x7f800000, v24, vcc_lo
	v_cmp_nlt_f32_e32 vcc_lo, 0x42b17218, v2
	v_exp_f32_e32 v24, v27
	v_fmac_f32_e32 v52, 0x32a5705f, v6
	v_sub_f32_e32 v29, v29, v53
	v_cndmask_b32_e64 v1, 0, v1, s17
	v_cndmask_b32_e32 v2, 0x7f800000, v25, vcc_lo
	v_cmp_ngt_f32_e32 vcc_lo, 0xc2ce8ed0, v3
	v_add_f32_e32 v25, v28, v50
	v_fma_f32 v54, 0x3fb8aa3b, v7, -v30
	v_rndne_f32_e32 v55, v30
	v_add_f32_e32 v27, v2, v1
	v_cndmask_b32_e32 v26, 0, v26, vcc_lo
	v_cmp_nlt_f32_e32 vcc_lo, 0x42b17218, v3
	v_exp_f32_e32 v25, v25
	v_ldexp_f32 v24, v24, v49
	v_cvt_i32_f32_e32 v51, v51
	v_mul_f32_e32 v31, 0x3fb8aa3b, v8
	v_cndmask_b32_e32 v3, 0x7f800000, v26, vcc_lo
	v_cndmask_b32_e64 v26, v1, v27, s0
	v_cmp_ngt_f32_e32 vcc_lo, 0xc2ce8ed0, v4
	v_add_f32_e32 v27, v29, v52
	v_fmac_f32_e32 v54, 0x32a5705f, v7
	v_sub_f32_e32 v30, v30, v55
	v_add_f32_e32 v29, v26, v3
	v_cndmask_b32_e32 v24, 0, v24, vcc_lo
	v_cmp_nlt_f32_e32 vcc_lo, 0x42b17218, v4
	v_exp_f32_e32 v27, v27
	v_ldexp_f32 v25, v25, v51
	v_fma_f32 v56, 0x3fb8aa3b, v8, -v31
	v_rndne_f32_e32 v57, v31
	v_cndmask_b32_e32 v4, 0x7f800000, v24, vcc_lo
	v_cndmask_b32_e64 v24, v26, v29, s1
	v_cmp_ngt_f32_e32 vcc_lo, 0xc2ce8ed0, v5
	v_cvt_i32_f32_e32 v53, v53
	v_add_f32_e32 v26, v30, v54
	v_mul_f32_e32 v32, 0x3fb8aa3b, v9
	v_add_f32_e32 v30, v24, v4
	v_cndmask_b32_e32 v25, 0, v25, vcc_lo
	v_cmp_nlt_f32_e32 vcc_lo, 0x42b17218, v5
	v_fmac_f32_e32 v56, 0x32a5705f, v8
	v_sub_f32_e32 v31, v31, v57
	v_exp_f32_e32 v26, v26
	v_ldexp_f32 v27, v27, v53
	v_cndmask_b32_e32 v5, 0x7f800000, v25, vcc_lo
	v_cndmask_b32_e64 v24, v24, v30, s2
	v_cmp_ngt_f32_e32 vcc_lo, 0xc2ce8ed0, v6
	v_fma_f32 v58, 0x3fb8aa3b, v9, -v32
	v_rndne_f32_e32 v59, v32
	v_cvt_i32_f32_e32 v55, v55
	v_add_f32_e32 v25, v31, v56
	v_cndmask_b32_e32 v27, 0, v27, vcc_lo
	v_add_f32_e32 v30, v24, v5
	v_cmp_nlt_f32_e32 vcc_lo, 0x42b17218, v6
	v_mul_f32_e32 v33, 0x3fb8aa3b, v10
	v_fmac_f32_e32 v58, 0x32a5705f, v9
	v_sub_f32_e32 v32, v32, v59
	v_exp_f32_e32 v25, v25
	v_ldexp_f32 v26, v26, v55
	v_cndmask_b32_e32 v6, 0x7f800000, v27, vcc_lo
	v_cndmask_b32_e64 v24, v24, v30, s3
	v_cmp_ngt_f32_e32 vcc_lo, 0xc2ce8ed0, v7
	v_fma_f32 v60, 0x3fb8aa3b, v10, -v33
	v_rndne_f32_e32 v61, v33
	v_cvt_i32_f32_e32 v57, v57
	v_add_f32_e32 v27, v32, v58
	v_cndmask_b32_e32 v26, 0, v26, vcc_lo
	v_add_f32_e32 v31, v24, v6
	v_cmp_nlt_f32_e32 vcc_lo, 0x42b17218, v7
	v_mul_f32_e32 v34, 0x3fb8aa3b, v11
	;; [unrolled: 15-line block ×9, first 2 shown]
	v_fmac_f32_e32 v93, 0x32a5705f, v17
	v_sub_f32_e32 v28, v40, v94
	v_exp_f32_e32 v26, v26
	v_ldexp_f32 v27, v27, v31
	v_cndmask_b32_e32 v14, 0x7f800000, v25, vcc_lo
	v_cndmask_b32_e64 v24, v24, v29, s11
	v_cmp_ngt_f32_e32 vcc_lo, 0xc2ce8ed0, v15
	v_fma_f32 v95, 0x3fb8aa3b, v18, -v41
	v_rndne_f32_e32 v96, v41
	v_cvt_i32_f32_e32 v33, v92
	v_add_f32_e32 v25, v28, v93
	v_cndmask_b32_e32 v27, 0, v27, vcc_lo
	v_add_f32_e32 v29, v24, v14
	v_cmp_nlt_f32_e32 vcc_lo, 0x42b17218, v15
	v_fmac_f32_e32 v95, 0x32a5705f, v18
	v_sub_f32_e32 v28, v41, v96
	v_exp_f32_e32 v25, v25
	v_ldexp_f32 v26, v26, v33
	v_cndmask_b32_e32 v15, 0x7f800000, v27, vcc_lo
	v_cndmask_b32_e64 v24, v24, v29, s12
	v_cmp_ngt_f32_e32 vcc_lo, 0xc2ce8ed0, v16
	v_add_f32_e32 v27, v28, v95
	v_cvt_i32_f32_e32 v28, v94
	v_cndmask_b32_e64 v2, 0, v2, s0
	v_add_f32_e32 v29, v24, v15
	v_cndmask_b32_e32 v26, 0, v26, vcc_lo
	v_cmp_nlt_f32_e32 vcc_lo, 0x42b17218, v16
	v_exp_f32_e32 v27, v27
	v_ldexp_f32 v25, v25, v28
	v_cndmask_b32_e64 v24, v24, v29, s13
	v_cndmask_b32_e64 v3, 0, v3, s1
	v_cndmask_b32_e32 v16, 0x7f800000, v26, vcc_lo
	v_cmp_ngt_f32_e32 vcc_lo, 0xc2ce8ed0, v17
	v_cvt_i32_f32_e32 v26, v96
	v_cndmask_b32_e64 v4, 0, v4, s2
	v_cndmask_b32_e64 v5, 0, v5, s3
	v_add_f32_e32 v28, v24, v16
	v_cndmask_b32_e32 v25, 0, v25, vcc_lo
	v_cmp_nlt_f32_e32 vcc_lo, 0x42b17218, v17
	v_ldexp_f32 v26, v27, v26
	v_cndmask_b32_e64 v6, 0, v6, s4
	v_cndmask_b32_e64 v24, v24, v28, s14
	;; [unrolled: 1-line block ×3, first 2 shown]
	v_cndmask_b32_e32 v17, 0x7f800000, v25, vcc_lo
	v_cmp_ngt_f32_e32 vcc_lo, 0xc2ce8ed0, v18
	v_cndmask_b32_e64 v8, 0, v8, s6
	v_cndmask_b32_e64 v9, 0, v9, s7
	;; [unrolled: 1-line block ×4, first 2 shown]
	v_cndmask_b32_e32 v25, 0, v26, vcc_lo
	v_add_f32_e32 v26, v24, v17
	v_cmp_nlt_f32_e32 vcc_lo, 0x42b17218, v18
	v_cndmask_b32_e64 v12, 0, v12, s10
	v_cndmask_b32_e64 v13, 0, v13, s11
	;; [unrolled: 1-line block ×4, first 2 shown]
	v_cndmask_b32_e32 v18, 0x7f800000, v25, vcc_lo
	v_cndmask_b32_e64 v15, 0, v15, s13
	v_cndmask_b32_e64 v16, 0, v16, s14
	v_cndmask_b32_e64 v17, 0, v17, s15
	v_add_f32_e32 v25, v24, v18
	v_cndmask_b32_e64 v18, 0, v18, s16
	v_cndmask_b32_e64 v24, v24, v25, s16
	ds_bpermute_b32 v19, v19, v24
	s_waitcnt lgkmcnt(0)
	v_add_f32_e32 v19, v24, v19
	ds_bpermute_b32 v20, v20, v19
	s_waitcnt lgkmcnt(0)
	v_add_f32_e32 v19, v19, v20
	;; [unrolled: 3-line block ×5, first 2 shown]
	v_div_scale_f32 v20, null, v19, v19, 1.0
	v_div_scale_f32 v23, vcc_lo, 1.0, v19, 1.0
	v_rcp_f32_e32 v21, v20
	v_fma_f32 v22, -v20, v21, 1.0
	v_fmac_f32_e32 v21, v22, v21
	v_mul_f32_e32 v22, v23, v21
	v_fma_f32 v24, -v20, v22, v23
	v_fmac_f32_e32 v22, v24, v21
	v_fma_f32 v20, -v20, v22, v23
	v_div_fmas_f32 v20, v20, v21, v22
	v_div_fixup_f32 v19, v20, v19, 1.0
	v_mul_f32_e32 v20, v1, v19
	v_mul_f32_e32 v21, v2, v19
	v_mul_f32_e32 v22, v3, v19
	v_mul_f32_e32 v23, v4, v19
	v_mul_f32_e32 v24, v5, v19
	v_mul_f32_e32 v25, v6, v19
	v_mul_f32_e32 v26, v7, v19
	v_mul_f32_e32 v27, v8, v19
	v_mul_f32_e32 v28, v9, v19
	v_mul_f32_e32 v29, v10, v19
	v_mul_f32_e32 v30, v11, v19
	v_mul_f32_e32 v31, v12, v19
	v_mul_f32_e32 v32, v13, v19
	v_mul_f32_e32 v33, v14, v19
	v_mul_f32_e32 v34, v15, v19
	v_mul_f32_e32 v35, v16, v19
	v_mul_f32_e32 v36, v17, v19
	v_mul_f32_e32 v19, v18, v19
	v_cndmask_b32_e64 v1, v1, v20, s17
	v_cndmask_b32_e64 v2, v2, v21, s0
	;; [unrolled: 1-line block ×18, first 2 shown]
.LBB21_42:
	v_mul_lo_u32 v19, v66, s21
	s_mov_b32 s0, exec_lo
	v_ashrrev_i32_e32 v20, 31, v19
	v_lshlrev_b64 v[19:20], 2, v[19:20]
	v_add_co_u32 v19, vcc_lo, s18, v19
	v_add_co_ci_u32_e64 v20, null, s19, v20, vcc_lo
	v_cmpx_gt_i32_e64 s21, v0
	s_cbranch_execnz .LBB21_62
; %bb.43:
	s_or_b32 exec_lo, exec_lo, s0
	s_mov_b32 s0, exec_lo
	v_cmpx_gt_i32_e64 s21, v84
	s_cbranch_execnz .LBB21_63
.LBB21_44:
	s_or_b32 exec_lo, exec_lo, s0
	s_mov_b32 s0, exec_lo
	v_cmpx_gt_i32_e64 s21, v83
	s_cbranch_execnz .LBB21_64
.LBB21_45:
	s_or_b32 exec_lo, exec_lo, s0
	s_mov_b32 s0, exec_lo
	v_cmpx_gt_i32_e64 s21, v82
	s_cbranch_execnz .LBB21_65
.LBB21_46:
	s_or_b32 exec_lo, exec_lo, s0
	s_mov_b32 s0, exec_lo
	v_cmpx_gt_i32_e64 s21, v81
	s_cbranch_execnz .LBB21_66
.LBB21_47:
	s_or_b32 exec_lo, exec_lo, s0
	s_mov_b32 s0, exec_lo
	v_cmpx_gt_i32_e64 s21, v80
	s_cbranch_execnz .LBB21_67
.LBB21_48:
	s_or_b32 exec_lo, exec_lo, s0
	s_mov_b32 s0, exec_lo
	v_cmpx_gt_i32_e64 s21, v79
	s_cbranch_execnz .LBB21_68
.LBB21_49:
	s_or_b32 exec_lo, exec_lo, s0
	s_mov_b32 s0, exec_lo
	v_cmpx_gt_i32_e64 s21, v78
	s_cbranch_execnz .LBB21_69
.LBB21_50:
	s_or_b32 exec_lo, exec_lo, s0
	s_mov_b32 s0, exec_lo
	v_cmpx_gt_i32_e64 s21, v77
	s_cbranch_execnz .LBB21_70
.LBB21_51:
	s_or_b32 exec_lo, exec_lo, s0
	s_mov_b32 s0, exec_lo
	v_cmpx_gt_i32_e64 s21, v76
	s_cbranch_execnz .LBB21_71
.LBB21_52:
	s_or_b32 exec_lo, exec_lo, s0
	s_mov_b32 s0, exec_lo
	v_cmpx_gt_i32_e64 s21, v75
	s_cbranch_execnz .LBB21_72
.LBB21_53:
	s_or_b32 exec_lo, exec_lo, s0
	s_mov_b32 s0, exec_lo
	v_cmpx_gt_i32_e64 s21, v74
	s_cbranch_execnz .LBB21_73
.LBB21_54:
	s_or_b32 exec_lo, exec_lo, s0
	s_mov_b32 s0, exec_lo
	v_cmpx_gt_i32_e64 s21, v73
	s_cbranch_execnz .LBB21_74
.LBB21_55:
	s_or_b32 exec_lo, exec_lo, s0
	s_mov_b32 s0, exec_lo
	v_cmpx_gt_i32_e64 s21, v72
	s_cbranch_execnz .LBB21_75
.LBB21_56:
	s_or_b32 exec_lo, exec_lo, s0
	s_mov_b32 s0, exec_lo
	v_cmpx_gt_i32_e64 s21, v71
	s_cbranch_execnz .LBB21_76
.LBB21_57:
	s_or_b32 exec_lo, exec_lo, s0
	s_mov_b32 s0, exec_lo
	v_cmpx_gt_i32_e64 s21, v70
	s_cbranch_execnz .LBB21_77
.LBB21_58:
	s_or_b32 exec_lo, exec_lo, s0
	s_mov_b32 s0, exec_lo
	v_cmpx_gt_i32_e64 s21, v69
	s_cbranch_execnz .LBB21_78
.LBB21_59:
	s_or_b32 exec_lo, exec_lo, s0
	v_cmp_gt_i32_e32 vcc_lo, s21, v68
	s_and_b32 exec_lo, exec_lo, vcc_lo
	s_cbranch_execz .LBB21_61
.LBB21_60:
	v_lshlrev_b32_e32 v0, 2, v68
	v_mul_f32_e32 v2, s23, v18
	v_add_co_u32 v0, vcc_lo, v19, v0
	v_add_co_ci_u32_e64 v1, null, 0, v20, vcc_lo
	global_store_dword v[0:1], v2, off
.LBB21_61:
	s_endpgm
.LBB21_62:
	v_add_co_u32 v21, vcc_lo, v19, v67
	v_add_co_ci_u32_e64 v22, null, 0, v20, vcc_lo
	v_mul_f32_e32 v0, s23, v1
	global_store_dword v[21:22], v0, off
	s_or_b32 exec_lo, exec_lo, s0
	s_mov_b32 s0, exec_lo
	v_cmpx_gt_i32_e64 s21, v84
	s_cbranch_execz .LBB21_44
.LBB21_63:
	v_add_co_u32 v0, vcc_lo, v19, v67
	v_add_co_ci_u32_e64 v1, null, 0, v20, vcc_lo
	v_mul_f32_e32 v2, s23, v2
	global_store_dword v[0:1], v2, off offset:128
	s_or_b32 exec_lo, exec_lo, s0
	s_mov_b32 s0, exec_lo
	v_cmpx_gt_i32_e64 s21, v83
	s_cbranch_execz .LBB21_45
.LBB21_64:
	v_add_co_u32 v0, vcc_lo, v19, v67
	v_add_co_ci_u32_e64 v1, null, 0, v20, vcc_lo
	v_mul_f32_e32 v2, s23, v3
	global_store_dword v[0:1], v2, off offset:256
	s_or_b32 exec_lo, exec_lo, s0
	s_mov_b32 s0, exec_lo
	v_cmpx_gt_i32_e64 s21, v82
	s_cbranch_execz .LBB21_46
.LBB21_65:
	v_add_co_u32 v0, vcc_lo, v19, v67
	v_add_co_ci_u32_e64 v1, null, 0, v20, vcc_lo
	v_mul_f32_e32 v2, s23, v4
	global_store_dword v[0:1], v2, off offset:384
	s_or_b32 exec_lo, exec_lo, s0
	s_mov_b32 s0, exec_lo
	v_cmpx_gt_i32_e64 s21, v81
	s_cbranch_execz .LBB21_47
.LBB21_66:
	v_add_co_u32 v0, vcc_lo, v19, v67
	v_add_co_ci_u32_e64 v1, null, 0, v20, vcc_lo
	v_mul_f32_e32 v2, s23, v5
	global_store_dword v[0:1], v2, off offset:512
	s_or_b32 exec_lo, exec_lo, s0
	s_mov_b32 s0, exec_lo
	v_cmpx_gt_i32_e64 s21, v80
	s_cbranch_execz .LBB21_48
.LBB21_67:
	v_add_co_u32 v0, vcc_lo, v19, v67
	v_add_co_ci_u32_e64 v1, null, 0, v20, vcc_lo
	v_mul_f32_e32 v2, s23, v6
	global_store_dword v[0:1], v2, off offset:640
	s_or_b32 exec_lo, exec_lo, s0
	s_mov_b32 s0, exec_lo
	v_cmpx_gt_i32_e64 s21, v79
	s_cbranch_execz .LBB21_49
.LBB21_68:
	v_add_co_u32 v0, vcc_lo, v19, v67
	v_add_co_ci_u32_e64 v1, null, 0, v20, vcc_lo
	v_mul_f32_e32 v2, s23, v7
	global_store_dword v[0:1], v2, off offset:768
	s_or_b32 exec_lo, exec_lo, s0
	s_mov_b32 s0, exec_lo
	v_cmpx_gt_i32_e64 s21, v78
	s_cbranch_execz .LBB21_50
.LBB21_69:
	v_add_co_u32 v0, vcc_lo, v19, v67
	v_add_co_ci_u32_e64 v1, null, 0, v20, vcc_lo
	v_mul_f32_e32 v2, s23, v8
	global_store_dword v[0:1], v2, off offset:896
	s_or_b32 exec_lo, exec_lo, s0
	s_mov_b32 s0, exec_lo
	v_cmpx_gt_i32_e64 s21, v77
	s_cbranch_execz .LBB21_51
.LBB21_70:
	v_add_co_u32 v0, vcc_lo, v19, v67
	v_add_co_ci_u32_e64 v1, null, 0, v20, vcc_lo
	v_mul_f32_e32 v2, s23, v9
	global_store_dword v[0:1], v2, off offset:1024
	s_or_b32 exec_lo, exec_lo, s0
	s_mov_b32 s0, exec_lo
	v_cmpx_gt_i32_e64 s21, v76
	s_cbranch_execz .LBB21_52
.LBB21_71:
	v_add_co_u32 v0, vcc_lo, v19, v67
	v_add_co_ci_u32_e64 v1, null, 0, v20, vcc_lo
	v_mul_f32_e32 v2, s23, v10
	global_store_dword v[0:1], v2, off offset:1152
	s_or_b32 exec_lo, exec_lo, s0
	s_mov_b32 s0, exec_lo
	v_cmpx_gt_i32_e64 s21, v75
	s_cbranch_execz .LBB21_53
.LBB21_72:
	v_add_co_u32 v0, vcc_lo, v19, v67
	v_add_co_ci_u32_e64 v1, null, 0, v20, vcc_lo
	v_mul_f32_e32 v2, s23, v11
	global_store_dword v[0:1], v2, off offset:1280
	s_or_b32 exec_lo, exec_lo, s0
	s_mov_b32 s0, exec_lo
	v_cmpx_gt_i32_e64 s21, v74
	s_cbranch_execz .LBB21_54
.LBB21_73:
	v_add_co_u32 v0, vcc_lo, v19, v67
	v_add_co_ci_u32_e64 v1, null, 0, v20, vcc_lo
	v_mul_f32_e32 v2, s23, v12
	global_store_dword v[0:1], v2, off offset:1408
	s_or_b32 exec_lo, exec_lo, s0
	s_mov_b32 s0, exec_lo
	v_cmpx_gt_i32_e64 s21, v73
	s_cbranch_execz .LBB21_55
.LBB21_74:
	v_add_co_u32 v0, vcc_lo, v19, v67
	v_add_co_ci_u32_e64 v1, null, 0, v20, vcc_lo
	v_mul_f32_e32 v2, s23, v13
	global_store_dword v[0:1], v2, off offset:1536
	s_or_b32 exec_lo, exec_lo, s0
	s_mov_b32 s0, exec_lo
	v_cmpx_gt_i32_e64 s21, v72
	s_cbranch_execz .LBB21_56
.LBB21_75:
	v_add_co_u32 v0, vcc_lo, v19, v67
	v_add_co_ci_u32_e64 v1, null, 0, v20, vcc_lo
	v_mul_f32_e32 v2, s23, v14
	global_store_dword v[0:1], v2, off offset:1664
	s_or_b32 exec_lo, exec_lo, s0
	s_mov_b32 s0, exec_lo
	v_cmpx_gt_i32_e64 s21, v71
	s_cbranch_execz .LBB21_57
.LBB21_76:
	v_add_co_u32 v0, vcc_lo, v19, v67
	v_add_co_ci_u32_e64 v1, null, 0, v20, vcc_lo
	v_mul_f32_e32 v2, s23, v15
	global_store_dword v[0:1], v2, off offset:1792
	s_or_b32 exec_lo, exec_lo, s0
	s_mov_b32 s0, exec_lo
	v_cmpx_gt_i32_e64 s21, v70
	s_cbranch_execz .LBB21_58
.LBB21_77:
	v_add_co_u32 v0, vcc_lo, v19, v67
	v_add_co_ci_u32_e64 v1, null, 0, v20, vcc_lo
	v_mul_f32_e32 v2, s23, v16
	global_store_dword v[0:1], v2, off offset:1920
	s_or_b32 exec_lo, exec_lo, s0
	s_mov_b32 s0, exec_lo
	v_cmpx_gt_i32_e64 s21, v69
	s_cbranch_execz .LBB21_59
.LBB21_78:
	v_lshlrev_b32_e32 v0, 2, v69
	v_mul_f32_e32 v2, s23, v17
	v_add_co_u32 v0, vcc_lo, v19, v0
	v_add_co_ci_u32_e64 v1, null, 0, v20, vcc_lo
	global_store_dword v[0:1], v2, off
	s_or_b32 exec_lo, exec_lo, s0
	v_cmp_gt_i32_e32 vcc_lo, s21, v68
	s_and_b32 exec_lo, exec_lo, vcc_lo
	s_cbranch_execnz .LBB21_60
	s_branch .LBB21_61
	.section	.rodata,"a",@progbits
	.p2align	6, 0x0
	.amdhsa_kernel _Z13topk_moe_cudaILi576ELb0EEvPKfPfPiS2_iiff15topk_moe_config
		.amdhsa_group_segment_fixed_size 0
		.amdhsa_private_segment_fixed_size 0
		.amdhsa_kernarg_size 312
		.amdhsa_user_sgpr_count 6
		.amdhsa_user_sgpr_private_segment_buffer 1
		.amdhsa_user_sgpr_dispatch_ptr 0
		.amdhsa_user_sgpr_queue_ptr 0
		.amdhsa_user_sgpr_kernarg_segment_ptr 1
		.amdhsa_user_sgpr_dispatch_id 0
		.amdhsa_user_sgpr_flat_scratch_init 0
		.amdhsa_user_sgpr_private_segment_size 0
		.amdhsa_wavefront_size32 1
		.amdhsa_uses_dynamic_stack 0
		.amdhsa_system_sgpr_private_segment_wavefront_offset 0
		.amdhsa_system_sgpr_workgroup_id_x 1
		.amdhsa_system_sgpr_workgroup_id_y 0
		.amdhsa_system_sgpr_workgroup_id_z 0
		.amdhsa_system_sgpr_workgroup_info 0
		.amdhsa_system_vgpr_workitem_id 1
		.amdhsa_next_free_vgpr 100
		.amdhsa_next_free_sgpr 24
		.amdhsa_reserve_vcc 1
		.amdhsa_reserve_flat_scratch 0
		.amdhsa_float_round_mode_32 0
		.amdhsa_float_round_mode_16_64 0
		.amdhsa_float_denorm_mode_32 3
		.amdhsa_float_denorm_mode_16_64 3
		.amdhsa_dx10_clamp 1
		.amdhsa_ieee_mode 1
		.amdhsa_fp16_overflow 0
		.amdhsa_workgroup_processor_mode 1
		.amdhsa_memory_ordered 1
		.amdhsa_forward_progress 1
		.amdhsa_shared_vgpr_count 0
		.amdhsa_exception_fp_ieee_invalid_op 0
		.amdhsa_exception_fp_denorm_src 0
		.amdhsa_exception_fp_ieee_div_zero 0
		.amdhsa_exception_fp_ieee_overflow 0
		.amdhsa_exception_fp_ieee_underflow 0
		.amdhsa_exception_fp_ieee_inexact 0
		.amdhsa_exception_int_div_zero 0
	.end_amdhsa_kernel
	.section	.text._Z13topk_moe_cudaILi576ELb0EEvPKfPfPiS2_iiff15topk_moe_config,"axG",@progbits,_Z13topk_moe_cudaILi576ELb0EEvPKfPfPiS2_iiff15topk_moe_config,comdat
.Lfunc_end21:
	.size	_Z13topk_moe_cudaILi576ELb0EEvPKfPfPiS2_iiff15topk_moe_config, .Lfunc_end21-_Z13topk_moe_cudaILi576ELb0EEvPKfPfPiS2_iiff15topk_moe_config
                                        ; -- End function
	.set _Z13topk_moe_cudaILi576ELb0EEvPKfPfPiS2_iiff15topk_moe_config.num_vgpr, 100
	.set _Z13topk_moe_cudaILi576ELb0EEvPKfPfPiS2_iiff15topk_moe_config.num_agpr, 0
	.set _Z13topk_moe_cudaILi576ELb0EEvPKfPfPiS2_iiff15topk_moe_config.numbered_sgpr, 24
	.set _Z13topk_moe_cudaILi576ELb0EEvPKfPfPiS2_iiff15topk_moe_config.num_named_barrier, 0
	.set _Z13topk_moe_cudaILi576ELb0EEvPKfPfPiS2_iiff15topk_moe_config.private_seg_size, 0
	.set _Z13topk_moe_cudaILi576ELb0EEvPKfPfPiS2_iiff15topk_moe_config.uses_vcc, 1
	.set _Z13topk_moe_cudaILi576ELb0EEvPKfPfPiS2_iiff15topk_moe_config.uses_flat_scratch, 0
	.set _Z13topk_moe_cudaILi576ELb0EEvPKfPfPiS2_iiff15topk_moe_config.has_dyn_sized_stack, 0
	.set _Z13topk_moe_cudaILi576ELb0EEvPKfPfPiS2_iiff15topk_moe_config.has_recursion, 0
	.set _Z13topk_moe_cudaILi576ELb0EEvPKfPfPiS2_iiff15topk_moe_config.has_indirect_call, 0
	.section	.AMDGPU.csdata,"",@progbits
; Kernel info:
; codeLenInByte = 12640
; TotalNumSgprs: 26
; NumVgprs: 100
; ScratchSize: 0
; MemoryBound: 0
; FloatMode: 240
; IeeeMode: 1
; LDSByteSize: 0 bytes/workgroup (compile time only)
; SGPRBlocks: 0
; VGPRBlocks: 12
; NumSGPRsForWavesPerEU: 26
; NumVGPRsForWavesPerEU: 100
; Occupancy: 9
; WaveLimiterHint : 1
; COMPUTE_PGM_RSRC2:SCRATCH_EN: 0
; COMPUTE_PGM_RSRC2:USER_SGPR: 6
; COMPUTE_PGM_RSRC2:TRAP_HANDLER: 0
; COMPUTE_PGM_RSRC2:TGID_X_EN: 1
; COMPUTE_PGM_RSRC2:TGID_Y_EN: 0
; COMPUTE_PGM_RSRC2:TGID_Z_EN: 0
; COMPUTE_PGM_RSRC2:TIDIG_COMP_CNT: 1
	.section	.AMDGPU.gpr_maximums,"",@progbits
	.set amdgpu.max_num_vgpr, 0
	.set amdgpu.max_num_agpr, 0
	.set amdgpu.max_num_sgpr, 0
	.section	.AMDGPU.csdata,"",@progbits
	.type	__hip_cuid_98ed6c63affe4334,@object ; @__hip_cuid_98ed6c63affe4334
	.section	.bss,"aw",@nobits
	.globl	__hip_cuid_98ed6c63affe4334
__hip_cuid_98ed6c63affe4334:
	.byte	0                               ; 0x0
	.size	__hip_cuid_98ed6c63affe4334, 1

	.ident	"AMD clang version 22.0.0git (https://github.com/RadeonOpenCompute/llvm-project roc-7.2.4 26084 f58b06dce1f9c15707c5f808fd002e18c2accf7e)"
	.section	".note.GNU-stack","",@progbits
	.addrsig
	.addrsig_sym __hip_cuid_98ed6c63affe4334
	.amdgpu_metadata
---
amdhsa.kernels:
  - .args:
      - .address_space:  global
        .offset:         0
        .size:           8
        .value_kind:     global_buffer
      - .address_space:  global
        .offset:         8
        .size:           8
        .value_kind:     global_buffer
      - .address_space:  global
        .offset:         16
        .size:           8
        .value_kind:     global_buffer
      - .address_space:  global
        .offset:         24
        .size:           8
        .value_kind:     global_buffer
      - .offset:         32
        .size:           4
        .value_kind:     by_value
      - .offset:         36
        .size:           4
        .value_kind:     by_value
      - .offset:         40
        .size:           4
        .value_kind:     by_value
      - .offset:         44
        .size:           4
        .value_kind:     by_value
      - .offset:         48
        .size:           3
        .value_kind:     by_value
      - .offset:         56
        .size:           4
        .value_kind:     hidden_block_count_x
      - .offset:         60
        .size:           4
        .value_kind:     hidden_block_count_y
      - .offset:         64
        .size:           4
        .value_kind:     hidden_block_count_z
      - .offset:         68
        .size:           2
        .value_kind:     hidden_group_size_x
      - .offset:         70
        .size:           2
        .value_kind:     hidden_group_size_y
      - .offset:         72
        .size:           2
        .value_kind:     hidden_group_size_z
      - .offset:         74
        .size:           2
        .value_kind:     hidden_remainder_x
      - .offset:         76
        .size:           2
        .value_kind:     hidden_remainder_y
      - .offset:         78
        .size:           2
        .value_kind:     hidden_remainder_z
      - .offset:         96
        .size:           8
        .value_kind:     hidden_global_offset_x
      - .offset:         104
        .size:           8
        .value_kind:     hidden_global_offset_y
      - .offset:         112
        .size:           8
        .value_kind:     hidden_global_offset_z
      - .offset:         120
        .size:           2
        .value_kind:     hidden_grid_dims
    .group_segment_fixed_size: 0
    .kernarg_segment_align: 8
    .kernarg_segment_size: 312
    .language:       OpenCL C
    .language_version:
      - 2
      - 0
    .max_flat_workgroup_size: 128
    .name:           _Z13topk_moe_cudaILi1ELb1EEvPKfPfPiS2_iiff15topk_moe_config
    .private_segment_fixed_size: 0
    .sgpr_count:     18
    .sgpr_spill_count: 0
    .symbol:         _Z13topk_moe_cudaILi1ELb1EEvPKfPfPiS2_iiff15topk_moe_config.kd
    .uniform_work_group_size: 1
    .uses_dynamic_stack: false
    .vgpr_count:     22
    .vgpr_spill_count: 0
    .wavefront_size: 32
    .workgroup_processor_mode: 1
  - .args:
      - .address_space:  global
        .offset:         0
        .size:           8
        .value_kind:     global_buffer
      - .address_space:  global
        .offset:         8
        .size:           8
        .value_kind:     global_buffer
      - .address_space:  global
        .offset:         16
        .size:           8
        .value_kind:     global_buffer
      - .address_space:  global
        .offset:         24
        .size:           8
        .value_kind:     global_buffer
      - .offset:         32
        .size:           4
        .value_kind:     by_value
      - .offset:         36
        .size:           4
        .value_kind:     by_value
      - .offset:         40
        .size:           4
        .value_kind:     by_value
      - .offset:         44
        .size:           4
        .value_kind:     by_value
      - .offset:         48
        .size:           3
        .value_kind:     by_value
      - .offset:         56
        .size:           4
        .value_kind:     hidden_block_count_x
      - .offset:         60
        .size:           4
        .value_kind:     hidden_block_count_y
      - .offset:         64
        .size:           4
        .value_kind:     hidden_block_count_z
      - .offset:         68
        .size:           2
        .value_kind:     hidden_group_size_x
      - .offset:         70
        .size:           2
        .value_kind:     hidden_group_size_y
      - .offset:         72
        .size:           2
        .value_kind:     hidden_group_size_z
      - .offset:         74
        .size:           2
        .value_kind:     hidden_remainder_x
      - .offset:         76
        .size:           2
        .value_kind:     hidden_remainder_y
      - .offset:         78
        .size:           2
        .value_kind:     hidden_remainder_z
      - .offset:         96
        .size:           8
        .value_kind:     hidden_global_offset_x
      - .offset:         104
        .size:           8
        .value_kind:     hidden_global_offset_y
      - .offset:         112
        .size:           8
        .value_kind:     hidden_global_offset_z
      - .offset:         120
        .size:           2
        .value_kind:     hidden_grid_dims
    .group_segment_fixed_size: 0
    .kernarg_segment_align: 8
    .kernarg_segment_size: 312
    .language:       OpenCL C
    .language_version:
      - 2
      - 0
    .max_flat_workgroup_size: 128
    .name:           _Z13topk_moe_cudaILi2ELb1EEvPKfPfPiS2_iiff15topk_moe_config
    .private_segment_fixed_size: 0
    .sgpr_count:     18
    .sgpr_spill_count: 0
    .symbol:         _Z13topk_moe_cudaILi2ELb1EEvPKfPfPiS2_iiff15topk_moe_config.kd
    .uniform_work_group_size: 1
    .uses_dynamic_stack: false
    .vgpr_count:     23
    .vgpr_spill_count: 0
    .wavefront_size: 32
    .workgroup_processor_mode: 1
  - .args:
      - .address_space:  global
        .offset:         0
        .size:           8
        .value_kind:     global_buffer
      - .address_space:  global
        .offset:         8
        .size:           8
        .value_kind:     global_buffer
      - .address_space:  global
        .offset:         16
        .size:           8
        .value_kind:     global_buffer
      - .address_space:  global
        .offset:         24
        .size:           8
        .value_kind:     global_buffer
      - .offset:         32
        .size:           4
        .value_kind:     by_value
      - .offset:         36
        .size:           4
        .value_kind:     by_value
      - .offset:         40
        .size:           4
        .value_kind:     by_value
      - .offset:         44
        .size:           4
        .value_kind:     by_value
      - .offset:         48
        .size:           3
        .value_kind:     by_value
      - .offset:         56
        .size:           4
        .value_kind:     hidden_block_count_x
      - .offset:         60
        .size:           4
        .value_kind:     hidden_block_count_y
      - .offset:         64
        .size:           4
        .value_kind:     hidden_block_count_z
      - .offset:         68
        .size:           2
        .value_kind:     hidden_group_size_x
      - .offset:         70
        .size:           2
        .value_kind:     hidden_group_size_y
      - .offset:         72
        .size:           2
        .value_kind:     hidden_group_size_z
      - .offset:         74
        .size:           2
        .value_kind:     hidden_remainder_x
      - .offset:         76
        .size:           2
        .value_kind:     hidden_remainder_y
      - .offset:         78
        .size:           2
        .value_kind:     hidden_remainder_z
      - .offset:         96
        .size:           8
        .value_kind:     hidden_global_offset_x
      - .offset:         104
        .size:           8
        .value_kind:     hidden_global_offset_y
      - .offset:         112
        .size:           8
        .value_kind:     hidden_global_offset_z
      - .offset:         120
        .size:           2
        .value_kind:     hidden_grid_dims
    .group_segment_fixed_size: 0
    .kernarg_segment_align: 8
    .kernarg_segment_size: 312
    .language:       OpenCL C
    .language_version:
      - 2
      - 0
    .max_flat_workgroup_size: 128
    .name:           _Z13topk_moe_cudaILi4ELb1EEvPKfPfPiS2_iiff15topk_moe_config
    .private_segment_fixed_size: 0
    .sgpr_count:     18
    .sgpr_spill_count: 0
    .symbol:         _Z13topk_moe_cudaILi4ELb1EEvPKfPfPiS2_iiff15topk_moe_config.kd
    .uniform_work_group_size: 1
    .uses_dynamic_stack: false
    .vgpr_count:     23
    .vgpr_spill_count: 0
    .wavefront_size: 32
    .workgroup_processor_mode: 1
  - .args:
      - .address_space:  global
        .offset:         0
        .size:           8
        .value_kind:     global_buffer
      - .address_space:  global
        .offset:         8
        .size:           8
        .value_kind:     global_buffer
      - .address_space:  global
        .offset:         16
        .size:           8
        .value_kind:     global_buffer
      - .address_space:  global
        .offset:         24
        .size:           8
        .value_kind:     global_buffer
      - .offset:         32
        .size:           4
        .value_kind:     by_value
      - .offset:         36
        .size:           4
        .value_kind:     by_value
      - .offset:         40
        .size:           4
        .value_kind:     by_value
      - .offset:         44
        .size:           4
        .value_kind:     by_value
      - .offset:         48
        .size:           3
        .value_kind:     by_value
      - .offset:         56
        .size:           4
        .value_kind:     hidden_block_count_x
      - .offset:         60
        .size:           4
        .value_kind:     hidden_block_count_y
      - .offset:         64
        .size:           4
        .value_kind:     hidden_block_count_z
      - .offset:         68
        .size:           2
        .value_kind:     hidden_group_size_x
      - .offset:         70
        .size:           2
        .value_kind:     hidden_group_size_y
      - .offset:         72
        .size:           2
        .value_kind:     hidden_group_size_z
      - .offset:         74
        .size:           2
        .value_kind:     hidden_remainder_x
      - .offset:         76
        .size:           2
        .value_kind:     hidden_remainder_y
      - .offset:         78
        .size:           2
        .value_kind:     hidden_remainder_z
      - .offset:         96
        .size:           8
        .value_kind:     hidden_global_offset_x
      - .offset:         104
        .size:           8
        .value_kind:     hidden_global_offset_y
      - .offset:         112
        .size:           8
        .value_kind:     hidden_global_offset_z
      - .offset:         120
        .size:           2
        .value_kind:     hidden_grid_dims
    .group_segment_fixed_size: 0
    .kernarg_segment_align: 8
    .kernarg_segment_size: 312
    .language:       OpenCL C
    .language_version:
      - 2
      - 0
    .max_flat_workgroup_size: 128
    .name:           _Z13topk_moe_cudaILi8ELb1EEvPKfPfPiS2_iiff15topk_moe_config
    .private_segment_fixed_size: 0
    .sgpr_count:     18
    .sgpr_spill_count: 0
    .symbol:         _Z13topk_moe_cudaILi8ELb1EEvPKfPfPiS2_iiff15topk_moe_config.kd
    .uniform_work_group_size: 1
    .uses_dynamic_stack: false
    .vgpr_count:     23
    .vgpr_spill_count: 0
    .wavefront_size: 32
    .workgroup_processor_mode: 1
  - .args:
      - .address_space:  global
        .offset:         0
        .size:           8
        .value_kind:     global_buffer
      - .address_space:  global
        .offset:         8
        .size:           8
        .value_kind:     global_buffer
      - .address_space:  global
        .offset:         16
        .size:           8
        .value_kind:     global_buffer
      - .address_space:  global
        .offset:         24
        .size:           8
        .value_kind:     global_buffer
      - .offset:         32
        .size:           4
        .value_kind:     by_value
      - .offset:         36
        .size:           4
        .value_kind:     by_value
      - .offset:         40
        .size:           4
        .value_kind:     by_value
      - .offset:         44
        .size:           4
        .value_kind:     by_value
      - .offset:         48
        .size:           3
        .value_kind:     by_value
      - .offset:         56
        .size:           4
        .value_kind:     hidden_block_count_x
      - .offset:         60
        .size:           4
        .value_kind:     hidden_block_count_y
      - .offset:         64
        .size:           4
        .value_kind:     hidden_block_count_z
      - .offset:         68
        .size:           2
        .value_kind:     hidden_group_size_x
      - .offset:         70
        .size:           2
        .value_kind:     hidden_group_size_y
      - .offset:         72
        .size:           2
        .value_kind:     hidden_group_size_z
      - .offset:         74
        .size:           2
        .value_kind:     hidden_remainder_x
      - .offset:         76
        .size:           2
        .value_kind:     hidden_remainder_y
      - .offset:         78
        .size:           2
        .value_kind:     hidden_remainder_z
      - .offset:         96
        .size:           8
        .value_kind:     hidden_global_offset_x
      - .offset:         104
        .size:           8
        .value_kind:     hidden_global_offset_y
      - .offset:         112
        .size:           8
        .value_kind:     hidden_global_offset_z
      - .offset:         120
        .size:           2
        .value_kind:     hidden_grid_dims
    .group_segment_fixed_size: 0
    .kernarg_segment_align: 8
    .kernarg_segment_size: 312
    .language:       OpenCL C
    .language_version:
      - 2
      - 0
    .max_flat_workgroup_size: 128
    .name:           _Z13topk_moe_cudaILi16ELb1EEvPKfPfPiS2_iiff15topk_moe_config
    .private_segment_fixed_size: 0
    .sgpr_count:     18
    .sgpr_spill_count: 0
    .symbol:         _Z13topk_moe_cudaILi16ELb1EEvPKfPfPiS2_iiff15topk_moe_config.kd
    .uniform_work_group_size: 1
    .uses_dynamic_stack: false
    .vgpr_count:     23
    .vgpr_spill_count: 0
    .wavefront_size: 32
    .workgroup_processor_mode: 1
  - .args:
      - .address_space:  global
        .offset:         0
        .size:           8
        .value_kind:     global_buffer
      - .address_space:  global
        .offset:         8
        .size:           8
        .value_kind:     global_buffer
      - .address_space:  global
        .offset:         16
        .size:           8
        .value_kind:     global_buffer
      - .address_space:  global
        .offset:         24
        .size:           8
        .value_kind:     global_buffer
      - .offset:         32
        .size:           4
        .value_kind:     by_value
      - .offset:         36
        .size:           4
        .value_kind:     by_value
      - .offset:         40
        .size:           4
        .value_kind:     by_value
      - .offset:         44
        .size:           4
        .value_kind:     by_value
      - .offset:         48
        .size:           3
        .value_kind:     by_value
      - .offset:         56
        .size:           4
        .value_kind:     hidden_block_count_x
      - .offset:         60
        .size:           4
        .value_kind:     hidden_block_count_y
      - .offset:         64
        .size:           4
        .value_kind:     hidden_block_count_z
      - .offset:         68
        .size:           2
        .value_kind:     hidden_group_size_x
      - .offset:         70
        .size:           2
        .value_kind:     hidden_group_size_y
      - .offset:         72
        .size:           2
        .value_kind:     hidden_group_size_z
      - .offset:         74
        .size:           2
        .value_kind:     hidden_remainder_x
      - .offset:         76
        .size:           2
        .value_kind:     hidden_remainder_y
      - .offset:         78
        .size:           2
        .value_kind:     hidden_remainder_z
      - .offset:         96
        .size:           8
        .value_kind:     hidden_global_offset_x
      - .offset:         104
        .size:           8
        .value_kind:     hidden_global_offset_y
      - .offset:         112
        .size:           8
        .value_kind:     hidden_global_offset_z
      - .offset:         120
        .size:           2
        .value_kind:     hidden_grid_dims
    .group_segment_fixed_size: 0
    .kernarg_segment_align: 8
    .kernarg_segment_size: 312
    .language:       OpenCL C
    .language_version:
      - 2
      - 0
    .max_flat_workgroup_size: 128
    .name:           _Z13topk_moe_cudaILi32ELb1EEvPKfPfPiS2_iiff15topk_moe_config
    .private_segment_fixed_size: 0
    .sgpr_count:     18
    .sgpr_spill_count: 0
    .symbol:         _Z13topk_moe_cudaILi32ELb1EEvPKfPfPiS2_iiff15topk_moe_config.kd
    .uniform_work_group_size: 1
    .uses_dynamic_stack: false
    .vgpr_count:     23
    .vgpr_spill_count: 0
    .wavefront_size: 32
    .workgroup_processor_mode: 1
  - .args:
      - .address_space:  global
        .offset:         0
        .size:           8
        .value_kind:     global_buffer
      - .address_space:  global
        .offset:         8
        .size:           8
        .value_kind:     global_buffer
      - .address_space:  global
        .offset:         16
        .size:           8
        .value_kind:     global_buffer
      - .address_space:  global
        .offset:         24
        .size:           8
        .value_kind:     global_buffer
      - .offset:         32
        .size:           4
        .value_kind:     by_value
      - .offset:         36
        .size:           4
        .value_kind:     by_value
      - .offset:         40
        .size:           4
        .value_kind:     by_value
      - .offset:         44
        .size:           4
        .value_kind:     by_value
      - .offset:         48
        .size:           3
        .value_kind:     by_value
      - .offset:         56
        .size:           4
        .value_kind:     hidden_block_count_x
      - .offset:         60
        .size:           4
        .value_kind:     hidden_block_count_y
      - .offset:         64
        .size:           4
        .value_kind:     hidden_block_count_z
      - .offset:         68
        .size:           2
        .value_kind:     hidden_group_size_x
      - .offset:         70
        .size:           2
        .value_kind:     hidden_group_size_y
      - .offset:         72
        .size:           2
        .value_kind:     hidden_group_size_z
      - .offset:         74
        .size:           2
        .value_kind:     hidden_remainder_x
      - .offset:         76
        .size:           2
        .value_kind:     hidden_remainder_y
      - .offset:         78
        .size:           2
        .value_kind:     hidden_remainder_z
      - .offset:         96
        .size:           8
        .value_kind:     hidden_global_offset_x
      - .offset:         104
        .size:           8
        .value_kind:     hidden_global_offset_y
      - .offset:         112
        .size:           8
        .value_kind:     hidden_global_offset_z
      - .offset:         120
        .size:           2
        .value_kind:     hidden_grid_dims
    .group_segment_fixed_size: 0
    .kernarg_segment_align: 8
    .kernarg_segment_size: 312
    .language:       OpenCL C
    .language_version:
      - 2
      - 0
    .max_flat_workgroup_size: 128
    .name:           _Z13topk_moe_cudaILi64ELb1EEvPKfPfPiS2_iiff15topk_moe_config
    .private_segment_fixed_size: 0
    .sgpr_count:     22
    .sgpr_spill_count: 0
    .symbol:         _Z13topk_moe_cudaILi64ELb1EEvPKfPfPiS2_iiff15topk_moe_config.kd
    .uniform_work_group_size: 1
    .uses_dynamic_stack: false
    .vgpr_count:     25
    .vgpr_spill_count: 0
    .wavefront_size: 32
    .workgroup_processor_mode: 1
  - .args:
      - .address_space:  global
        .offset:         0
        .size:           8
        .value_kind:     global_buffer
      - .address_space:  global
        .offset:         8
        .size:           8
        .value_kind:     global_buffer
      - .address_space:  global
        .offset:         16
        .size:           8
        .value_kind:     global_buffer
      - .address_space:  global
        .offset:         24
        .size:           8
        .value_kind:     global_buffer
      - .offset:         32
        .size:           4
        .value_kind:     by_value
      - .offset:         36
        .size:           4
        .value_kind:     by_value
      - .offset:         40
        .size:           4
        .value_kind:     by_value
      - .offset:         44
        .size:           4
        .value_kind:     by_value
      - .offset:         48
        .size:           3
        .value_kind:     by_value
      - .offset:         56
        .size:           4
        .value_kind:     hidden_block_count_x
      - .offset:         60
        .size:           4
        .value_kind:     hidden_block_count_y
      - .offset:         64
        .size:           4
        .value_kind:     hidden_block_count_z
      - .offset:         68
        .size:           2
        .value_kind:     hidden_group_size_x
      - .offset:         70
        .size:           2
        .value_kind:     hidden_group_size_y
      - .offset:         72
        .size:           2
        .value_kind:     hidden_group_size_z
      - .offset:         74
        .size:           2
        .value_kind:     hidden_remainder_x
      - .offset:         76
        .size:           2
        .value_kind:     hidden_remainder_y
      - .offset:         78
        .size:           2
        .value_kind:     hidden_remainder_z
      - .offset:         96
        .size:           8
        .value_kind:     hidden_global_offset_x
      - .offset:         104
        .size:           8
        .value_kind:     hidden_global_offset_y
      - .offset:         112
        .size:           8
        .value_kind:     hidden_global_offset_z
      - .offset:         120
        .size:           2
        .value_kind:     hidden_grid_dims
    .group_segment_fixed_size: 0
    .kernarg_segment_align: 8
    .kernarg_segment_size: 312
    .language:       OpenCL C
    .language_version:
      - 2
      - 0
    .max_flat_workgroup_size: 128
    .name:           _Z13topk_moe_cudaILi128ELb1EEvPKfPfPiS2_iiff15topk_moe_config
    .private_segment_fixed_size: 0
    .sgpr_count:     22
    .sgpr_spill_count: 0
    .symbol:         _Z13topk_moe_cudaILi128ELb1EEvPKfPfPiS2_iiff15topk_moe_config.kd
    .uniform_work_group_size: 1
    .uses_dynamic_stack: false
    .vgpr_count:     33
    .vgpr_spill_count: 0
    .wavefront_size: 32
    .workgroup_processor_mode: 1
  - .args:
      - .address_space:  global
        .offset:         0
        .size:           8
        .value_kind:     global_buffer
      - .address_space:  global
        .offset:         8
        .size:           8
        .value_kind:     global_buffer
      - .address_space:  global
        .offset:         16
        .size:           8
        .value_kind:     global_buffer
      - .address_space:  global
        .offset:         24
        .size:           8
        .value_kind:     global_buffer
      - .offset:         32
        .size:           4
        .value_kind:     by_value
      - .offset:         36
        .size:           4
        .value_kind:     by_value
      - .offset:         40
        .size:           4
        .value_kind:     by_value
      - .offset:         44
        .size:           4
        .value_kind:     by_value
      - .offset:         48
        .size:           3
        .value_kind:     by_value
      - .offset:         56
        .size:           4
        .value_kind:     hidden_block_count_x
      - .offset:         60
        .size:           4
        .value_kind:     hidden_block_count_y
      - .offset:         64
        .size:           4
        .value_kind:     hidden_block_count_z
      - .offset:         68
        .size:           2
        .value_kind:     hidden_group_size_x
      - .offset:         70
        .size:           2
        .value_kind:     hidden_group_size_y
      - .offset:         72
        .size:           2
        .value_kind:     hidden_group_size_z
      - .offset:         74
        .size:           2
        .value_kind:     hidden_remainder_x
      - .offset:         76
        .size:           2
        .value_kind:     hidden_remainder_y
      - .offset:         78
        .size:           2
        .value_kind:     hidden_remainder_z
      - .offset:         96
        .size:           8
        .value_kind:     hidden_global_offset_x
      - .offset:         104
        .size:           8
        .value_kind:     hidden_global_offset_y
      - .offset:         112
        .size:           8
        .value_kind:     hidden_global_offset_z
      - .offset:         120
        .size:           2
        .value_kind:     hidden_grid_dims
    .group_segment_fixed_size: 0
    .kernarg_segment_align: 8
    .kernarg_segment_size: 312
    .language:       OpenCL C
    .language_version:
      - 2
      - 0
    .max_flat_workgroup_size: 128
    .name:           _Z13topk_moe_cudaILi256ELb1EEvPKfPfPiS2_iiff15topk_moe_config
    .private_segment_fixed_size: 0
    .sgpr_count:     22
    .sgpr_spill_count: 0
    .symbol:         _Z13topk_moe_cudaILi256ELb1EEvPKfPfPiS2_iiff15topk_moe_config.kd
    .uniform_work_group_size: 1
    .uses_dynamic_stack: false
    .vgpr_count:     52
    .vgpr_spill_count: 0
    .wavefront_size: 32
    .workgroup_processor_mode: 1
  - .args:
      - .address_space:  global
        .offset:         0
        .size:           8
        .value_kind:     global_buffer
      - .address_space:  global
        .offset:         8
        .size:           8
        .value_kind:     global_buffer
      - .address_space:  global
        .offset:         16
        .size:           8
        .value_kind:     global_buffer
      - .address_space:  global
        .offset:         24
        .size:           8
        .value_kind:     global_buffer
      - .offset:         32
        .size:           4
        .value_kind:     by_value
      - .offset:         36
        .size:           4
        .value_kind:     by_value
      - .offset:         40
        .size:           4
        .value_kind:     by_value
      - .offset:         44
        .size:           4
        .value_kind:     by_value
      - .offset:         48
        .size:           3
        .value_kind:     by_value
      - .offset:         56
        .size:           4
        .value_kind:     hidden_block_count_x
      - .offset:         60
        .size:           4
        .value_kind:     hidden_block_count_y
      - .offset:         64
        .size:           4
        .value_kind:     hidden_block_count_z
      - .offset:         68
        .size:           2
        .value_kind:     hidden_group_size_x
      - .offset:         70
        .size:           2
        .value_kind:     hidden_group_size_y
      - .offset:         72
        .size:           2
        .value_kind:     hidden_group_size_z
      - .offset:         74
        .size:           2
        .value_kind:     hidden_remainder_x
      - .offset:         76
        .size:           2
        .value_kind:     hidden_remainder_y
      - .offset:         78
        .size:           2
        .value_kind:     hidden_remainder_z
      - .offset:         96
        .size:           8
        .value_kind:     hidden_global_offset_x
      - .offset:         104
        .size:           8
        .value_kind:     hidden_global_offset_y
      - .offset:         112
        .size:           8
        .value_kind:     hidden_global_offset_z
      - .offset:         120
        .size:           2
        .value_kind:     hidden_grid_dims
    .group_segment_fixed_size: 0
    .kernarg_segment_align: 8
    .kernarg_segment_size: 312
    .language:       OpenCL C
    .language_version:
      - 2
      - 0
    .max_flat_workgroup_size: 128
    .name:           _Z13topk_moe_cudaILi512ELb1EEvPKfPfPiS2_iiff15topk_moe_config
    .private_segment_fixed_size: 0
    .sgpr_count:     30
    .sgpr_spill_count: 0
    .symbol:         _Z13topk_moe_cudaILi512ELb1EEvPKfPfPiS2_iiff15topk_moe_config.kd
    .uniform_work_group_size: 1
    .uses_dynamic_stack: false
    .vgpr_count:     92
    .vgpr_spill_count: 0
    .wavefront_size: 32
    .workgroup_processor_mode: 1
  - .args:
      - .address_space:  global
        .offset:         0
        .size:           8
        .value_kind:     global_buffer
      - .address_space:  global
        .offset:         8
        .size:           8
        .value_kind:     global_buffer
      - .address_space:  global
        .offset:         16
        .size:           8
        .value_kind:     global_buffer
      - .address_space:  global
        .offset:         24
        .size:           8
        .value_kind:     global_buffer
      - .offset:         32
        .size:           4
        .value_kind:     by_value
      - .offset:         36
        .size:           4
        .value_kind:     by_value
      - .offset:         40
        .size:           4
        .value_kind:     by_value
      - .offset:         44
        .size:           4
        .value_kind:     by_value
      - .offset:         48
        .size:           3
        .value_kind:     by_value
      - .offset:         56
        .size:           4
        .value_kind:     hidden_block_count_x
      - .offset:         60
        .size:           4
        .value_kind:     hidden_block_count_y
      - .offset:         64
        .size:           4
        .value_kind:     hidden_block_count_z
      - .offset:         68
        .size:           2
        .value_kind:     hidden_group_size_x
      - .offset:         70
        .size:           2
        .value_kind:     hidden_group_size_y
      - .offset:         72
        .size:           2
        .value_kind:     hidden_group_size_z
      - .offset:         74
        .size:           2
        .value_kind:     hidden_remainder_x
      - .offset:         76
        .size:           2
        .value_kind:     hidden_remainder_y
      - .offset:         78
        .size:           2
        .value_kind:     hidden_remainder_z
      - .offset:         96
        .size:           8
        .value_kind:     hidden_global_offset_x
      - .offset:         104
        .size:           8
        .value_kind:     hidden_global_offset_y
      - .offset:         112
        .size:           8
        .value_kind:     hidden_global_offset_z
      - .offset:         120
        .size:           2
        .value_kind:     hidden_grid_dims
    .group_segment_fixed_size: 0
    .kernarg_segment_align: 8
    .kernarg_segment_size: 312
    .language:       OpenCL C
    .language_version:
      - 2
      - 0
    .max_flat_workgroup_size: 128
    .name:           _Z13topk_moe_cudaILi576ELb1EEvPKfPfPiS2_iiff15topk_moe_config
    .private_segment_fixed_size: 0
    .sgpr_count:     30
    .sgpr_spill_count: 0
    .symbol:         _Z13topk_moe_cudaILi576ELb1EEvPKfPfPiS2_iiff15topk_moe_config.kd
    .uniform_work_group_size: 1
    .uses_dynamic_stack: false
    .vgpr_count:     116
    .vgpr_spill_count: 0
    .wavefront_size: 32
    .workgroup_processor_mode: 1
  - .args:
      - .address_space:  global
        .offset:         0
        .size:           8
        .value_kind:     global_buffer
      - .address_space:  global
        .offset:         8
        .size:           8
        .value_kind:     global_buffer
      - .address_space:  global
        .offset:         16
        .size:           8
        .value_kind:     global_buffer
      - .address_space:  global
        .offset:         24
        .size:           8
        .value_kind:     global_buffer
      - .offset:         32
        .size:           4
        .value_kind:     by_value
      - .offset:         36
        .size:           4
        .value_kind:     by_value
      - .offset:         40
        .size:           4
        .value_kind:     by_value
      - .offset:         44
        .size:           4
        .value_kind:     by_value
      - .offset:         48
        .size:           3
        .value_kind:     by_value
      - .offset:         56
        .size:           4
        .value_kind:     hidden_block_count_x
      - .offset:         60
        .size:           4
        .value_kind:     hidden_block_count_y
      - .offset:         64
        .size:           4
        .value_kind:     hidden_block_count_z
      - .offset:         68
        .size:           2
        .value_kind:     hidden_group_size_x
      - .offset:         70
        .size:           2
        .value_kind:     hidden_group_size_y
      - .offset:         72
        .size:           2
        .value_kind:     hidden_group_size_z
      - .offset:         74
        .size:           2
        .value_kind:     hidden_remainder_x
      - .offset:         76
        .size:           2
        .value_kind:     hidden_remainder_y
      - .offset:         78
        .size:           2
        .value_kind:     hidden_remainder_z
      - .offset:         96
        .size:           8
        .value_kind:     hidden_global_offset_x
      - .offset:         104
        .size:           8
        .value_kind:     hidden_global_offset_y
      - .offset:         112
        .size:           8
        .value_kind:     hidden_global_offset_z
      - .offset:         120
        .size:           2
        .value_kind:     hidden_grid_dims
    .group_segment_fixed_size: 0
    .kernarg_segment_align: 8
    .kernarg_segment_size: 312
    .language:       OpenCL C
    .language_version:
      - 2
      - 0
    .max_flat_workgroup_size: 128
    .name:           _Z13topk_moe_cudaILi1ELb0EEvPKfPfPiS2_iiff15topk_moe_config
    .private_segment_fixed_size: 0
    .sgpr_count:     14
    .sgpr_spill_count: 0
    .symbol:         _Z13topk_moe_cudaILi1ELb0EEvPKfPfPiS2_iiff15topk_moe_config.kd
    .uniform_work_group_size: 1
    .uses_dynamic_stack: false
    .vgpr_count:     18
    .vgpr_spill_count: 0
    .wavefront_size: 32
    .workgroup_processor_mode: 1
  - .args:
      - .address_space:  global
        .offset:         0
        .size:           8
        .value_kind:     global_buffer
      - .address_space:  global
        .offset:         8
        .size:           8
        .value_kind:     global_buffer
      - .address_space:  global
        .offset:         16
        .size:           8
        .value_kind:     global_buffer
      - .address_space:  global
        .offset:         24
        .size:           8
        .value_kind:     global_buffer
      - .offset:         32
        .size:           4
        .value_kind:     by_value
      - .offset:         36
        .size:           4
        .value_kind:     by_value
      - .offset:         40
        .size:           4
        .value_kind:     by_value
      - .offset:         44
        .size:           4
        .value_kind:     by_value
      - .offset:         48
        .size:           3
        .value_kind:     by_value
      - .offset:         56
        .size:           4
        .value_kind:     hidden_block_count_x
      - .offset:         60
        .size:           4
        .value_kind:     hidden_block_count_y
      - .offset:         64
        .size:           4
        .value_kind:     hidden_block_count_z
      - .offset:         68
        .size:           2
        .value_kind:     hidden_group_size_x
      - .offset:         70
        .size:           2
        .value_kind:     hidden_group_size_y
      - .offset:         72
        .size:           2
        .value_kind:     hidden_group_size_z
      - .offset:         74
        .size:           2
        .value_kind:     hidden_remainder_x
      - .offset:         76
        .size:           2
        .value_kind:     hidden_remainder_y
      - .offset:         78
        .size:           2
        .value_kind:     hidden_remainder_z
      - .offset:         96
        .size:           8
        .value_kind:     hidden_global_offset_x
      - .offset:         104
        .size:           8
        .value_kind:     hidden_global_offset_y
      - .offset:         112
        .size:           8
        .value_kind:     hidden_global_offset_z
      - .offset:         120
        .size:           2
        .value_kind:     hidden_grid_dims
    .group_segment_fixed_size: 0
    .kernarg_segment_align: 8
    .kernarg_segment_size: 312
    .language:       OpenCL C
    .language_version:
      - 2
      - 0
    .max_flat_workgroup_size: 128
    .name:           _Z13topk_moe_cudaILi2ELb0EEvPKfPfPiS2_iiff15topk_moe_config
    .private_segment_fixed_size: 0
    .sgpr_count:     14
    .sgpr_spill_count: 0
    .symbol:         _Z13topk_moe_cudaILi2ELb0EEvPKfPfPiS2_iiff15topk_moe_config.kd
    .uniform_work_group_size: 1
    .uses_dynamic_stack: false
    .vgpr_count:     19
    .vgpr_spill_count: 0
    .wavefront_size: 32
    .workgroup_processor_mode: 1
  - .args:
      - .address_space:  global
        .offset:         0
        .size:           8
        .value_kind:     global_buffer
      - .address_space:  global
        .offset:         8
        .size:           8
        .value_kind:     global_buffer
      - .address_space:  global
        .offset:         16
        .size:           8
        .value_kind:     global_buffer
      - .address_space:  global
        .offset:         24
        .size:           8
        .value_kind:     global_buffer
      - .offset:         32
        .size:           4
        .value_kind:     by_value
      - .offset:         36
        .size:           4
        .value_kind:     by_value
      - .offset:         40
        .size:           4
        .value_kind:     by_value
      - .offset:         44
        .size:           4
        .value_kind:     by_value
      - .offset:         48
        .size:           3
        .value_kind:     by_value
      - .offset:         56
        .size:           4
        .value_kind:     hidden_block_count_x
      - .offset:         60
        .size:           4
        .value_kind:     hidden_block_count_y
      - .offset:         64
        .size:           4
        .value_kind:     hidden_block_count_z
      - .offset:         68
        .size:           2
        .value_kind:     hidden_group_size_x
      - .offset:         70
        .size:           2
        .value_kind:     hidden_group_size_y
      - .offset:         72
        .size:           2
        .value_kind:     hidden_group_size_z
      - .offset:         74
        .size:           2
        .value_kind:     hidden_remainder_x
      - .offset:         76
        .size:           2
        .value_kind:     hidden_remainder_y
      - .offset:         78
        .size:           2
        .value_kind:     hidden_remainder_z
      - .offset:         96
        .size:           8
        .value_kind:     hidden_global_offset_x
      - .offset:         104
        .size:           8
        .value_kind:     hidden_global_offset_y
      - .offset:         112
        .size:           8
        .value_kind:     hidden_global_offset_z
      - .offset:         120
        .size:           2
        .value_kind:     hidden_grid_dims
    .group_segment_fixed_size: 0
    .kernarg_segment_align: 8
    .kernarg_segment_size: 312
    .language:       OpenCL C
    .language_version:
      - 2
      - 0
    .max_flat_workgroup_size: 128
    .name:           _Z13topk_moe_cudaILi4ELb0EEvPKfPfPiS2_iiff15topk_moe_config
    .private_segment_fixed_size: 0
    .sgpr_count:     14
    .sgpr_spill_count: 0
    .symbol:         _Z13topk_moe_cudaILi4ELb0EEvPKfPfPiS2_iiff15topk_moe_config.kd
    .uniform_work_group_size: 1
    .uses_dynamic_stack: false
    .vgpr_count:     19
    .vgpr_spill_count: 0
    .wavefront_size: 32
    .workgroup_processor_mode: 1
  - .args:
      - .address_space:  global
        .offset:         0
        .size:           8
        .value_kind:     global_buffer
      - .address_space:  global
        .offset:         8
        .size:           8
        .value_kind:     global_buffer
      - .address_space:  global
        .offset:         16
        .size:           8
        .value_kind:     global_buffer
      - .address_space:  global
        .offset:         24
        .size:           8
        .value_kind:     global_buffer
      - .offset:         32
        .size:           4
        .value_kind:     by_value
      - .offset:         36
        .size:           4
        .value_kind:     by_value
      - .offset:         40
        .size:           4
        .value_kind:     by_value
      - .offset:         44
        .size:           4
        .value_kind:     by_value
      - .offset:         48
        .size:           3
        .value_kind:     by_value
      - .offset:         56
        .size:           4
        .value_kind:     hidden_block_count_x
      - .offset:         60
        .size:           4
        .value_kind:     hidden_block_count_y
      - .offset:         64
        .size:           4
        .value_kind:     hidden_block_count_z
      - .offset:         68
        .size:           2
        .value_kind:     hidden_group_size_x
      - .offset:         70
        .size:           2
        .value_kind:     hidden_group_size_y
      - .offset:         72
        .size:           2
        .value_kind:     hidden_group_size_z
      - .offset:         74
        .size:           2
        .value_kind:     hidden_remainder_x
      - .offset:         76
        .size:           2
        .value_kind:     hidden_remainder_y
      - .offset:         78
        .size:           2
        .value_kind:     hidden_remainder_z
      - .offset:         96
        .size:           8
        .value_kind:     hidden_global_offset_x
      - .offset:         104
        .size:           8
        .value_kind:     hidden_global_offset_y
      - .offset:         112
        .size:           8
        .value_kind:     hidden_global_offset_z
      - .offset:         120
        .size:           2
        .value_kind:     hidden_grid_dims
    .group_segment_fixed_size: 0
    .kernarg_segment_align: 8
    .kernarg_segment_size: 312
    .language:       OpenCL C
    .language_version:
      - 2
      - 0
    .max_flat_workgroup_size: 128
    .name:           _Z13topk_moe_cudaILi8ELb0EEvPKfPfPiS2_iiff15topk_moe_config
    .private_segment_fixed_size: 0
    .sgpr_count:     14
    .sgpr_spill_count: 0
    .symbol:         _Z13topk_moe_cudaILi8ELb0EEvPKfPfPiS2_iiff15topk_moe_config.kd
    .uniform_work_group_size: 1
    .uses_dynamic_stack: false
    .vgpr_count:     19
    .vgpr_spill_count: 0
    .wavefront_size: 32
    .workgroup_processor_mode: 1
  - .args:
      - .address_space:  global
        .offset:         0
        .size:           8
        .value_kind:     global_buffer
      - .address_space:  global
        .offset:         8
        .size:           8
        .value_kind:     global_buffer
      - .address_space:  global
        .offset:         16
        .size:           8
        .value_kind:     global_buffer
      - .address_space:  global
        .offset:         24
        .size:           8
        .value_kind:     global_buffer
      - .offset:         32
        .size:           4
        .value_kind:     by_value
      - .offset:         36
        .size:           4
        .value_kind:     by_value
      - .offset:         40
        .size:           4
        .value_kind:     by_value
      - .offset:         44
        .size:           4
        .value_kind:     by_value
      - .offset:         48
        .size:           3
        .value_kind:     by_value
      - .offset:         56
        .size:           4
        .value_kind:     hidden_block_count_x
      - .offset:         60
        .size:           4
        .value_kind:     hidden_block_count_y
      - .offset:         64
        .size:           4
        .value_kind:     hidden_block_count_z
      - .offset:         68
        .size:           2
        .value_kind:     hidden_group_size_x
      - .offset:         70
        .size:           2
        .value_kind:     hidden_group_size_y
      - .offset:         72
        .size:           2
        .value_kind:     hidden_group_size_z
      - .offset:         74
        .size:           2
        .value_kind:     hidden_remainder_x
      - .offset:         76
        .size:           2
        .value_kind:     hidden_remainder_y
      - .offset:         78
        .size:           2
        .value_kind:     hidden_remainder_z
      - .offset:         96
        .size:           8
        .value_kind:     hidden_global_offset_x
      - .offset:         104
        .size:           8
        .value_kind:     hidden_global_offset_y
      - .offset:         112
        .size:           8
        .value_kind:     hidden_global_offset_z
      - .offset:         120
        .size:           2
        .value_kind:     hidden_grid_dims
    .group_segment_fixed_size: 0
    .kernarg_segment_align: 8
    .kernarg_segment_size: 312
    .language:       OpenCL C
    .language_version:
      - 2
      - 0
    .max_flat_workgroup_size: 128
    .name:           _Z13topk_moe_cudaILi16ELb0EEvPKfPfPiS2_iiff15topk_moe_config
    .private_segment_fixed_size: 0
    .sgpr_count:     14
    .sgpr_spill_count: 0
    .symbol:         _Z13topk_moe_cudaILi16ELb0EEvPKfPfPiS2_iiff15topk_moe_config.kd
    .uniform_work_group_size: 1
    .uses_dynamic_stack: false
    .vgpr_count:     19
    .vgpr_spill_count: 0
    .wavefront_size: 32
    .workgroup_processor_mode: 1
  - .args:
      - .address_space:  global
        .offset:         0
        .size:           8
        .value_kind:     global_buffer
      - .address_space:  global
        .offset:         8
        .size:           8
        .value_kind:     global_buffer
      - .address_space:  global
        .offset:         16
        .size:           8
        .value_kind:     global_buffer
      - .address_space:  global
        .offset:         24
        .size:           8
        .value_kind:     global_buffer
      - .offset:         32
        .size:           4
        .value_kind:     by_value
      - .offset:         36
        .size:           4
        .value_kind:     by_value
      - .offset:         40
        .size:           4
        .value_kind:     by_value
      - .offset:         44
        .size:           4
        .value_kind:     by_value
      - .offset:         48
        .size:           3
        .value_kind:     by_value
      - .offset:         56
        .size:           4
        .value_kind:     hidden_block_count_x
      - .offset:         60
        .size:           4
        .value_kind:     hidden_block_count_y
      - .offset:         64
        .size:           4
        .value_kind:     hidden_block_count_z
      - .offset:         68
        .size:           2
        .value_kind:     hidden_group_size_x
      - .offset:         70
        .size:           2
        .value_kind:     hidden_group_size_y
      - .offset:         72
        .size:           2
        .value_kind:     hidden_group_size_z
      - .offset:         74
        .size:           2
        .value_kind:     hidden_remainder_x
      - .offset:         76
        .size:           2
        .value_kind:     hidden_remainder_y
      - .offset:         78
        .size:           2
        .value_kind:     hidden_remainder_z
      - .offset:         96
        .size:           8
        .value_kind:     hidden_global_offset_x
      - .offset:         104
        .size:           8
        .value_kind:     hidden_global_offset_y
      - .offset:         112
        .size:           8
        .value_kind:     hidden_global_offset_z
      - .offset:         120
        .size:           2
        .value_kind:     hidden_grid_dims
    .group_segment_fixed_size: 0
    .kernarg_segment_align: 8
    .kernarg_segment_size: 312
    .language:       OpenCL C
    .language_version:
      - 2
      - 0
    .max_flat_workgroup_size: 128
    .name:           _Z13topk_moe_cudaILi32ELb0EEvPKfPfPiS2_iiff15topk_moe_config
    .private_segment_fixed_size: 0
    .sgpr_count:     14
    .sgpr_spill_count: 0
    .symbol:         _Z13topk_moe_cudaILi32ELb0EEvPKfPfPiS2_iiff15topk_moe_config.kd
    .uniform_work_group_size: 1
    .uses_dynamic_stack: false
    .vgpr_count:     19
    .vgpr_spill_count: 0
    .wavefront_size: 32
    .workgroup_processor_mode: 1
  - .args:
      - .address_space:  global
        .offset:         0
        .size:           8
        .value_kind:     global_buffer
      - .address_space:  global
        .offset:         8
        .size:           8
        .value_kind:     global_buffer
      - .address_space:  global
        .offset:         16
        .size:           8
        .value_kind:     global_buffer
      - .address_space:  global
        .offset:         24
        .size:           8
        .value_kind:     global_buffer
      - .offset:         32
        .size:           4
        .value_kind:     by_value
      - .offset:         36
        .size:           4
        .value_kind:     by_value
      - .offset:         40
        .size:           4
        .value_kind:     by_value
      - .offset:         44
        .size:           4
        .value_kind:     by_value
      - .offset:         48
        .size:           3
        .value_kind:     by_value
      - .offset:         56
        .size:           4
        .value_kind:     hidden_block_count_x
      - .offset:         60
        .size:           4
        .value_kind:     hidden_block_count_y
      - .offset:         64
        .size:           4
        .value_kind:     hidden_block_count_z
      - .offset:         68
        .size:           2
        .value_kind:     hidden_group_size_x
      - .offset:         70
        .size:           2
        .value_kind:     hidden_group_size_y
      - .offset:         72
        .size:           2
        .value_kind:     hidden_group_size_z
      - .offset:         74
        .size:           2
        .value_kind:     hidden_remainder_x
      - .offset:         76
        .size:           2
        .value_kind:     hidden_remainder_y
      - .offset:         78
        .size:           2
        .value_kind:     hidden_remainder_z
      - .offset:         96
        .size:           8
        .value_kind:     hidden_global_offset_x
      - .offset:         104
        .size:           8
        .value_kind:     hidden_global_offset_y
      - .offset:         112
        .size:           8
        .value_kind:     hidden_global_offset_z
      - .offset:         120
        .size:           2
        .value_kind:     hidden_grid_dims
    .group_segment_fixed_size: 0
    .kernarg_segment_align: 8
    .kernarg_segment_size: 312
    .language:       OpenCL C
    .language_version:
      - 2
      - 0
    .max_flat_workgroup_size: 128
    .name:           _Z13topk_moe_cudaILi64ELb0EEvPKfPfPiS2_iiff15topk_moe_config
    .private_segment_fixed_size: 0
    .sgpr_count:     14
    .sgpr_spill_count: 0
    .symbol:         _Z13topk_moe_cudaILi64ELb0EEvPKfPfPiS2_iiff15topk_moe_config.kd
    .uniform_work_group_size: 1
    .uses_dynamic_stack: false
    .vgpr_count:     21
    .vgpr_spill_count: 0
    .wavefront_size: 32
    .workgroup_processor_mode: 1
  - .args:
      - .address_space:  global
        .offset:         0
        .size:           8
        .value_kind:     global_buffer
      - .address_space:  global
        .offset:         8
        .size:           8
        .value_kind:     global_buffer
      - .address_space:  global
        .offset:         16
        .size:           8
        .value_kind:     global_buffer
      - .address_space:  global
        .offset:         24
        .size:           8
        .value_kind:     global_buffer
      - .offset:         32
        .size:           4
        .value_kind:     by_value
      - .offset:         36
        .size:           4
        .value_kind:     by_value
      - .offset:         40
        .size:           4
        .value_kind:     by_value
      - .offset:         44
        .size:           4
        .value_kind:     by_value
      - .offset:         48
        .size:           3
        .value_kind:     by_value
      - .offset:         56
        .size:           4
        .value_kind:     hidden_block_count_x
      - .offset:         60
        .size:           4
        .value_kind:     hidden_block_count_y
      - .offset:         64
        .size:           4
        .value_kind:     hidden_block_count_z
      - .offset:         68
        .size:           2
        .value_kind:     hidden_group_size_x
      - .offset:         70
        .size:           2
        .value_kind:     hidden_group_size_y
      - .offset:         72
        .size:           2
        .value_kind:     hidden_group_size_z
      - .offset:         74
        .size:           2
        .value_kind:     hidden_remainder_x
      - .offset:         76
        .size:           2
        .value_kind:     hidden_remainder_y
      - .offset:         78
        .size:           2
        .value_kind:     hidden_remainder_z
      - .offset:         96
        .size:           8
        .value_kind:     hidden_global_offset_x
      - .offset:         104
        .size:           8
        .value_kind:     hidden_global_offset_y
      - .offset:         112
        .size:           8
        .value_kind:     hidden_global_offset_z
      - .offset:         120
        .size:           2
        .value_kind:     hidden_grid_dims
    .group_segment_fixed_size: 0
    .kernarg_segment_align: 8
    .kernarg_segment_size: 312
    .language:       OpenCL C
    .language_version:
      - 2
      - 0
    .max_flat_workgroup_size: 128
    .name:           _Z13topk_moe_cudaILi128ELb0EEvPKfPfPiS2_iiff15topk_moe_config
    .private_segment_fixed_size: 0
    .sgpr_count:     18
    .sgpr_spill_count: 0
    .symbol:         _Z13topk_moe_cudaILi128ELb0EEvPKfPfPiS2_iiff15topk_moe_config.kd
    .uniform_work_group_size: 1
    .uses_dynamic_stack: false
    .vgpr_count:     30
    .vgpr_spill_count: 0
    .wavefront_size: 32
    .workgroup_processor_mode: 1
  - .args:
      - .address_space:  global
        .offset:         0
        .size:           8
        .value_kind:     global_buffer
      - .address_space:  global
        .offset:         8
        .size:           8
        .value_kind:     global_buffer
      - .address_space:  global
        .offset:         16
        .size:           8
        .value_kind:     global_buffer
      - .address_space:  global
        .offset:         24
        .size:           8
        .value_kind:     global_buffer
      - .offset:         32
        .size:           4
        .value_kind:     by_value
      - .offset:         36
        .size:           4
        .value_kind:     by_value
      - .offset:         40
        .size:           4
        .value_kind:     by_value
      - .offset:         44
        .size:           4
        .value_kind:     by_value
      - .offset:         48
        .size:           3
        .value_kind:     by_value
      - .offset:         56
        .size:           4
        .value_kind:     hidden_block_count_x
      - .offset:         60
        .size:           4
        .value_kind:     hidden_block_count_y
      - .offset:         64
        .size:           4
        .value_kind:     hidden_block_count_z
      - .offset:         68
        .size:           2
        .value_kind:     hidden_group_size_x
      - .offset:         70
        .size:           2
        .value_kind:     hidden_group_size_y
      - .offset:         72
        .size:           2
        .value_kind:     hidden_group_size_z
      - .offset:         74
        .size:           2
        .value_kind:     hidden_remainder_x
      - .offset:         76
        .size:           2
        .value_kind:     hidden_remainder_y
      - .offset:         78
        .size:           2
        .value_kind:     hidden_remainder_z
      - .offset:         96
        .size:           8
        .value_kind:     hidden_global_offset_x
      - .offset:         104
        .size:           8
        .value_kind:     hidden_global_offset_y
      - .offset:         112
        .size:           8
        .value_kind:     hidden_global_offset_z
      - .offset:         120
        .size:           2
        .value_kind:     hidden_grid_dims
    .group_segment_fixed_size: 0
    .kernarg_segment_align: 8
    .kernarg_segment_size: 312
    .language:       OpenCL C
    .language_version:
      - 2
      - 0
    .max_flat_workgroup_size: 128
    .name:           _Z13topk_moe_cudaILi256ELb0EEvPKfPfPiS2_iiff15topk_moe_config
    .private_segment_fixed_size: 0
    .sgpr_count:     18
    .sgpr_spill_count: 0
    .symbol:         _Z13topk_moe_cudaILi256ELb0EEvPKfPfPiS2_iiff15topk_moe_config.kd
    .uniform_work_group_size: 1
    .uses_dynamic_stack: false
    .vgpr_count:     50
    .vgpr_spill_count: 0
    .wavefront_size: 32
    .workgroup_processor_mode: 1
  - .args:
      - .address_space:  global
        .offset:         0
        .size:           8
        .value_kind:     global_buffer
      - .address_space:  global
        .offset:         8
        .size:           8
        .value_kind:     global_buffer
      - .address_space:  global
        .offset:         16
        .size:           8
        .value_kind:     global_buffer
      - .address_space:  global
        .offset:         24
        .size:           8
        .value_kind:     global_buffer
      - .offset:         32
        .size:           4
        .value_kind:     by_value
      - .offset:         36
        .size:           4
        .value_kind:     by_value
      - .offset:         40
        .size:           4
        .value_kind:     by_value
      - .offset:         44
        .size:           4
        .value_kind:     by_value
      - .offset:         48
        .size:           3
        .value_kind:     by_value
      - .offset:         56
        .size:           4
        .value_kind:     hidden_block_count_x
      - .offset:         60
        .size:           4
        .value_kind:     hidden_block_count_y
      - .offset:         64
        .size:           4
        .value_kind:     hidden_block_count_z
      - .offset:         68
        .size:           2
        .value_kind:     hidden_group_size_x
      - .offset:         70
        .size:           2
        .value_kind:     hidden_group_size_y
      - .offset:         72
        .size:           2
        .value_kind:     hidden_group_size_z
      - .offset:         74
        .size:           2
        .value_kind:     hidden_remainder_x
      - .offset:         76
        .size:           2
        .value_kind:     hidden_remainder_y
      - .offset:         78
        .size:           2
        .value_kind:     hidden_remainder_z
      - .offset:         96
        .size:           8
        .value_kind:     hidden_global_offset_x
      - .offset:         104
        .size:           8
        .value_kind:     hidden_global_offset_y
      - .offset:         112
        .size:           8
        .value_kind:     hidden_global_offset_z
      - .offset:         120
        .size:           2
        .value_kind:     hidden_grid_dims
    .group_segment_fixed_size: 0
    .kernarg_segment_align: 8
    .kernarg_segment_size: 312
    .language:       OpenCL C
    .language_version:
      - 2
      - 0
    .max_flat_workgroup_size: 128
    .name:           _Z13topk_moe_cudaILi512ELb0EEvPKfPfPiS2_iiff15topk_moe_config
    .private_segment_fixed_size: 0
    .sgpr_count:     54
    .sgpr_spill_count: 0
    .symbol:         _Z13topk_moe_cudaILi512ELb0EEvPKfPfPiS2_iiff15topk_moe_config.kd
    .uniform_work_group_size: 1
    .uses_dynamic_stack: false
    .vgpr_count:     90
    .vgpr_spill_count: 0
    .wavefront_size: 32
    .workgroup_processor_mode: 1
  - .args:
      - .address_space:  global
        .offset:         0
        .size:           8
        .value_kind:     global_buffer
      - .address_space:  global
        .offset:         8
        .size:           8
        .value_kind:     global_buffer
      - .address_space:  global
        .offset:         16
        .size:           8
        .value_kind:     global_buffer
      - .address_space:  global
        .offset:         24
        .size:           8
        .value_kind:     global_buffer
      - .offset:         32
        .size:           4
        .value_kind:     by_value
      - .offset:         36
        .size:           4
        .value_kind:     by_value
      - .offset:         40
        .size:           4
        .value_kind:     by_value
      - .offset:         44
        .size:           4
        .value_kind:     by_value
      - .offset:         48
        .size:           3
        .value_kind:     by_value
      - .offset:         56
        .size:           4
        .value_kind:     hidden_block_count_x
      - .offset:         60
        .size:           4
        .value_kind:     hidden_block_count_y
      - .offset:         64
        .size:           4
        .value_kind:     hidden_block_count_z
      - .offset:         68
        .size:           2
        .value_kind:     hidden_group_size_x
      - .offset:         70
        .size:           2
        .value_kind:     hidden_group_size_y
      - .offset:         72
        .size:           2
        .value_kind:     hidden_group_size_z
      - .offset:         74
        .size:           2
        .value_kind:     hidden_remainder_x
      - .offset:         76
        .size:           2
        .value_kind:     hidden_remainder_y
      - .offset:         78
        .size:           2
        .value_kind:     hidden_remainder_z
      - .offset:         96
        .size:           8
        .value_kind:     hidden_global_offset_x
      - .offset:         104
        .size:           8
        .value_kind:     hidden_global_offset_y
      - .offset:         112
        .size:           8
        .value_kind:     hidden_global_offset_z
      - .offset:         120
        .size:           2
        .value_kind:     hidden_grid_dims
    .group_segment_fixed_size: 0
    .kernarg_segment_align: 8
    .kernarg_segment_size: 312
    .language:       OpenCL C
    .language_version:
      - 2
      - 0
    .max_flat_workgroup_size: 128
    .name:           _Z13topk_moe_cudaILi576ELb0EEvPKfPfPiS2_iiff15topk_moe_config
    .private_segment_fixed_size: 0
    .sgpr_count:     26
    .sgpr_spill_count: 0
    .symbol:         _Z13topk_moe_cudaILi576ELb0EEvPKfPfPiS2_iiff15topk_moe_config.kd
    .uniform_work_group_size: 1
    .uses_dynamic_stack: false
    .vgpr_count:     100
    .vgpr_spill_count: 0
    .wavefront_size: 32
    .workgroup_processor_mode: 1
amdhsa.target:   amdgcn-amd-amdhsa--gfx1030
amdhsa.version:
  - 1
  - 2
...

	.end_amdgpu_metadata
